;; amdgpu-corpus repo=ROCm/rocFFT kind=compiled arch=gfx1100 opt=O3
	.text
	.amdgcn_target "amdgcn-amd-amdhsa--gfx1100"
	.amdhsa_code_object_version 6
	.protected	bluestein_single_fwd_len2700_dim1_dp_op_CI_CI ; -- Begin function bluestein_single_fwd_len2700_dim1_dp_op_CI_CI
	.globl	bluestein_single_fwd_len2700_dim1_dp_op_CI_CI
	.p2align	8
	.type	bluestein_single_fwd_len2700_dim1_dp_op_CI_CI,@function
bluestein_single_fwd_len2700_dim1_dp_op_CI_CI: ; @bluestein_single_fwd_len2700_dim1_dp_op_CI_CI
; %bb.0:
	s_load_b128 s[16:19], s[0:1], 0x28
	v_mul_u32_u24_e32 v1, 0x2d9, v0
	s_mov_b32 s2, exec_lo
	v_mov_b32_e32 v3, 0
	s_delay_alu instid0(VALU_DEP_2) | instskip(NEXT) | instid1(VALU_DEP_1)
	v_lshrrev_b32_e32 v1, 16, v1
	v_add_nc_u32_e32 v2, s15, v1
	s_waitcnt lgkmcnt(0)
	s_delay_alu instid0(VALU_DEP_1)
	v_cmpx_gt_u64_e64 s[16:17], v[2:3]
	s_cbranch_execz .LBB0_2
; %bb.1:
	s_clause 0x1
	s_load_b128 s[4:7], s[0:1], 0x18
	s_load_b128 s[8:11], s[0:1], 0x0
	v_mul_lo_u16 v1, 0x5a, v1
	v_mov_b32_e32 v6, v2
	s_mov_b32 s21, 0xbfee6f0e
	s_mov_b32 s17, 0xbfe2cf23
	;; [unrolled: 1-line block ×3, first 2 shown]
	v_sub_nc_u16 v151, v0, v1
	scratch_store_b64 off, v[6:7], off      ; 8-byte Folded Spill
	s_mov_b32 s23, 0x3fe9e377
	s_mov_b32 s25, 0xbfd3c6ef
	;; [unrolled: 1-line block ×3, first 2 shown]
	v_and_b32_e32 v150, 0xffff, v151
	s_mov_b32 s26, s22
	s_load_b64 s[0:1], s[0:1], 0x38
	s_waitcnt lgkmcnt(0)
	s_load_b128 s[12:15], s[4:5], 0x0
	s_waitcnt lgkmcnt(0)
	v_mad_u64_u32 v[0:1], null, s14, v2, 0
	v_mad_u64_u32 v[2:3], null, s12, v150, 0
	s_mul_hi_u32 s4, s12, 0x3840
	s_mul_i32 s3, s12, 0x3840
	s_mul_i32 s5, s12, 0xffff9520
	s_delay_alu instid0(VALU_DEP_1) | instskip(SKIP_3) | instid1(VALU_DEP_1)
	v_mad_u64_u32 v[4:5], null, s15, v6, v[1:2]
	s_mov_b32 s14, 0x372fe950
	s_mov_b32 s15, 0x3fd3c6ef
	;; [unrolled: 1-line block ×3, first 2 shown]
	v_mov_b32_e32 v1, v4
	v_mad_u64_u32 v[5:6], null, s13, v150, v[3:4]
	v_lshlrev_b32_e32 v32, 4, v150
	s_delay_alu instid0(VALU_DEP_3) | instskip(NEXT) | instid1(VALU_DEP_2)
	v_lshlrev_b64 v[0:1], 4, v[0:1]
	v_add_co_u32 v243, s2, s8, v32
	s_delay_alu instid0(VALU_DEP_4) | instskip(NEXT) | instid1(VALU_DEP_3)
	v_mov_b32_e32 v3, v5
	v_add_co_u32 v0, vcc_lo, s18, v0
	s_delay_alu instid0(VALU_DEP_4) | instskip(NEXT) | instid1(VALU_DEP_3)
	v_add_co_ci_u32_e32 v1, vcc_lo, s19, v1, vcc_lo
	v_lshlrev_b64 v[2:3], 4, v[2:3]
	v_add_co_ci_u32_e64 v6, null, s9, 0, s2
	s_mul_i32 s2, s13, 0x3840
	s_mulk_i32 s13, 0x9520
	s_add_i32 s2, s4, s2
	s_delay_alu instid0(VALU_DEP_1)
	v_mov_b32_e32 v107, v6
	v_add_co_u32 v4, vcc_lo, v0, v2
	v_add_co_ci_u32_e32 v5, vcc_lo, v1, v3, vcc_lo
	global_load_b128 v[53:56], v32, s[8:9]
	global_load_b128 v[0:3], v[4:5], off
	v_add_co_u32 v20, vcc_lo, 0x3000, v243
	v_add_co_ci_u32_e32 v21, vcc_lo, 0, v6, vcc_lo
	v_add_co_u32 v22, vcc_lo, 0x7000, v243
	v_add_co_ci_u32_e32 v23, vcc_lo, 0, v6, vcc_lo
	v_add_co_u32 v4, vcc_lo, v4, s3
	v_add_co_ci_u32_e32 v5, vcc_lo, s2, v5, vcc_lo
	global_load_b128 v[59:62], v[20:21], off offset:2112
	v_add_co_u32 v6, vcc_lo, v4, s3
	v_add_co_ci_u32_e32 v7, vcc_lo, s2, v5, vcc_lo
	global_load_b128 v[26:29], v[4:5], off
	global_load_b128 v[63:66], v[22:23], off offset:128
	global_load_b128 v[8:11], v[6:7], off
	s_mul_hi_u32 s4, s12, 0xffff9520
	v_add_co_u32 v4, vcc_lo, v6, s5
	s_sub_i32 s4, s4, s12
	global_load_b128 v[75:78], v32, s[8:9] offset:1440
	s_add_i32 s4, s4, s13
	s_mov_b32 s18, 0x134454ff
	v_add_co_ci_u32_e32 v5, vcc_lo, s4, v7, vcc_lo
	v_add_co_u32 v24, vcc_lo, v4, s3
	s_mov_b32 s19, 0x3fee6f0e
	s_delay_alu instid0(VALU_DEP_2)
	v_add_co_ci_u32_e32 v25, vcc_lo, s2, v5, vcc_lo
	global_load_b128 v[16:19], v[4:5], off
	global_load_b128 v[71:74], v[20:21], off offset:3552
	global_load_b128 v[12:15], v[24:25], off
	v_add_co_u32 v4, vcc_lo, v24, s3
	v_add_co_ci_u32_e32 v5, vcc_lo, s2, v25, vcc_lo
	global_load_b128 v[79:82], v[22:23], off offset:1568
	v_add_co_u32 v6, vcc_lo, v4, s5
	v_add_co_ci_u32_e32 v7, vcc_lo, s4, v5, vcc_lo
	global_load_b128 v[33:36], v[4:5], off
	global_load_b128 v[83:86], v32, s[8:9] offset:2880
	global_load_b128 v[37:40], v[6:7], off
	v_add_co_u32 v4, vcc_lo, 0x4000, v243
	v_add_co_ci_u32_e32 v5, vcc_lo, 0, v107, vcc_lo
	v_add_co_u32 v6, vcc_lo, v6, s3
	v_add_co_ci_u32_e32 v7, vcc_lo, s2, v7, vcc_lo
	global_load_b128 v[87:90], v[4:5], off offset:896
	v_add_co_u32 v30, vcc_lo, v6, s3
	v_add_co_ci_u32_e32 v31, vcc_lo, s2, v7, vcc_lo
	global_load_b128 v[41:44], v[6:7], off
	global_load_b128 v[91:94], v[22:23], off offset:3008
	global_load_b128 v[22:25], v[30:31], off
	v_add_co_u32 v69, vcc_lo, 0x1000, v243
	v_add_co_ci_u32_e32 v70, vcc_lo, 0, v107, vcc_lo
	v_add_co_u32 v6, vcc_lo, v30, s5
	v_add_co_ci_u32_e32 v7, vcc_lo, s4, v31, vcc_lo
	global_load_b128 v[95:98], v[69:70], off offset:224
	global_load_b128 v[45:48], v[6:7], off
	v_add_co_u32 v30, vcc_lo, v6, s3
	v_add_co_ci_u32_e32 v31, vcc_lo, s2, v7, vcc_lo
	global_load_b128 v[99:102], v[4:5], off offset:2336
	global_load_b128 v[49:52], v[30:31], off
	global_load_b128 v[121:124], v[20:21], off offset:672
	v_add_co_u32 v30, vcc_lo, v30, s3
	v_add_co_ci_u32_e32 v31, vcc_lo, s2, v31, vcc_lo
	s_mov_b32 s8, 0xe8584caa
	s_mov_b32 s9, 0x3febb67a
	;; [unrolled: 1-line block ×3, first 2 shown]
	v_mov_b32_e32 v113, v107
	s_waitcnt vmcnt(22)
	s_delay_alu instid0(VALU_DEP_1) | instskip(SKIP_2) | instid1(VALU_DEP_2)
	v_dual_mov_b32 v129, v113 :: v_dual_mov_b32 v58, v56
	v_dual_mov_b32 v57, v55 :: v_dual_mov_b32 v56, v54
	v_mov_b32_e32 v55, v53
	v_dual_mov_b32 v106, v58 :: v_dual_mov_b32 v105, v57
	s_waitcnt vmcnt(21)
	v_mul_f64 v[6:7], v[2:3], v[57:58]
	v_mul_f64 v[53:54], v[0:1], v[57:58]
	v_dual_mov_b32 v104, v56 :: v_dual_mov_b32 v103, v55
	s_waitcnt vmcnt(20)
	s_clause 0x1
	scratch_store_b128 off, v[59:62], off offset:200
	scratch_store_b128 off, v[103:106], off offset:216
	s_waitcnt vmcnt(19)
	v_mul_f64 v[20:21], v[28:29], v[61:62]
	s_waitcnt vmcnt(18)
	scratch_store_b128 off, v[63:66], off offset:168 ; 16-byte Folded Spill
	v_mul_f64 v[55:56], v[26:27], v[61:62]
	s_waitcnt vmcnt(16)
	scratch_store_b128 off, v[75:78], off offset:152 ; 16-byte Folded Spill
	s_waitcnt vmcnt(14)
	scratch_store_b128 off, v[71:74], off offset:120 ; 16-byte Folded Spill
	;; [unrolled: 2-line block ×3, first 2 shown]
	v_fma_f64 v[0:1], v[0:1], v[103:104], v[6:7]
	v_fma_f64 v[2:3], v[2:3], v[103:104], -v[53:54]
	v_mul_f64 v[6:7], v[10:11], v[65:66]
	v_mul_f64 v[53:54], v[8:9], v[65:66]
	s_waitcnt vmcnt(10)
	scratch_store_b128 off, v[83:86], off offset:72 ; 16-byte Folded Spill
	s_waitcnt vmcnt(8)
	scratch_store_b128 off, v[87:90], off offset:88 ; 16-byte Folded Spill
	v_fma_f64 v[26:27], v[26:27], v[59:60], v[20:21]
	v_mul_f64 v[20:21], v[18:19], v[77:78]
	v_fma_f64 v[28:29], v[28:29], v[59:60], -v[55:56]
	v_mul_f64 v[55:56], v[16:17], v[77:78]
	s_waitcnt vmcnt(6)
	scratch_store_b128 off, v[91:94], off offset:40 ; 16-byte Folded Spill
	s_waitcnt vmcnt(4)
	scratch_store_b128 off, v[95:98], off offset:8 ; 16-byte Folded Spill
	s_waitcnt vmcnt(2)
	scratch_store_b128 off, v[99:102], off offset:24 ; 16-byte Folded Spill
	v_fma_f64 v[6:7], v[8:9], v[63:64], v[6:7]
	v_fma_f64 v[8:9], v[10:11], v[63:64], -v[53:54]
	v_mul_f64 v[10:11], v[14:15], v[73:74]
	v_mul_f64 v[53:54], v[12:13], v[73:74]
	global_load_b128 v[61:64], v[69:70], off offset:1664
	v_fma_f64 v[16:17], v[16:17], v[75:76], v[20:21]
	v_mul_f64 v[20:21], v[35:36], v[81:82]
	v_fma_f64 v[18:19], v[18:19], v[75:76], -v[55:56]
	v_mul_f64 v[55:56], v[33:34], v[81:82]
	v_fma_f64 v[10:11], v[12:13], v[71:72], v[10:11]
	v_fma_f64 v[12:13], v[14:15], v[71:72], -v[53:54]
	v_mul_f64 v[14:15], v[39:40], v[85:86]
	v_mul_f64 v[53:54], v[37:38], v[85:86]
	v_fma_f64 v[33:34], v[33:34], v[79:80], v[20:21]
	v_mul_f64 v[20:21], v[43:44], v[89:90]
	v_fma_f64 v[35:36], v[35:36], v[79:80], -v[55:56]
	v_mul_f64 v[55:56], v[41:42], v[89:90]
	v_fma_f64 v[37:38], v[37:38], v[83:84], v[14:15]
	v_mul_f64 v[14:15], v[24:25], v[93:94]
	v_fma_f64 v[39:40], v[39:40], v[83:84], -v[53:54]
	v_mul_f64 v[53:54], v[22:23], v[93:94]
	v_fma_f64 v[41:42], v[41:42], v[87:88], v[20:21]
	v_fma_f64 v[43:44], v[43:44], v[87:88], -v[55:56]
	v_fma_f64 v[20:21], v[22:23], v[91:92], v[14:15]
	v_mul_f64 v[14:15], v[47:48], v[97:98]
	v_fma_f64 v[22:23], v[24:25], v[91:92], -v[53:54]
	v_mul_f64 v[24:25], v[45:46], v[97:98]
	s_delay_alu instid0(VALU_DEP_3) | instskip(SKIP_2) | instid1(VALU_DEP_3)
	v_fma_f64 v[45:46], v[45:46], v[95:96], v[14:15]
	s_waitcnt vmcnt(2)
	v_mul_f64 v[14:15], v[51:52], v[101:102]
	v_fma_f64 v[47:48], v[47:48], v[95:96], -v[24:25]
	v_mul_f64 v[24:25], v[49:50], v[101:102]
	s_delay_alu instid0(VALU_DEP_3)
	v_fma_f64 v[49:50], v[49:50], v[99:100], v[14:15]
	v_add_co_u32 v14, vcc_lo, 0x8000, v243
	v_add_co_ci_u32_e32 v15, vcc_lo, 0, v107, vcc_lo
	global_load_b128 v[53:56], v[30:31], off
	global_load_b128 v[65:68], v[14:15], off offset:352
	v_fma_f64 v[51:52], v[51:52], v[99:100], -v[24:25]
	global_load_b128 v[71:74], v[14:15], off offset:1792
	s_waitcnt vmcnt(1)
	v_mul_f64 v[24:25], v[55:56], v[67:68]
	v_mul_f64 v[57:58], v[53:54], v[67:68]
	scratch_store_b128 off, v[65:68], off offset:104 ; 16-byte Folded Spill
	s_waitcnt vmcnt(0)
	scratch_store_b128 off, v[71:74], off offset:232 ; 16-byte Folded Spill
	v_fma_f64 v[53:54], v[53:54], v[65:66], v[24:25]
	v_add_co_u32 v24, vcc_lo, v30, s5
	v_add_co_ci_u32_e32 v25, vcc_lo, s4, v31, vcc_lo
	v_fma_f64 v[55:56], v[55:56], v[65:66], -v[57:58]
	v_mov_b32_e32 v66, v64
	v_mov_b32_e32 v65, v63
	global_load_b128 v[57:60], v[24:25], off
	v_mov_b32_e32 v64, v62
	v_mov_b32_e32 v63, v61
	v_add_co_u32 v24, vcc_lo, v24, s3
	v_add_co_ci_u32_e32 v25, vcc_lo, s2, v25, vcc_lo
	scratch_store_b128 off, v[63:66], off offset:136 ; 16-byte Folded Spill
	s_waitcnt vmcnt(0)
	v_mul_f64 v[30:31], v[59:60], v[65:66]
	v_mul_f64 v[61:62], v[57:58], v[65:66]
	global_load_b128 v[65:68], v[4:5], off offset:3776
	v_fma_f64 v[57:58], v[57:58], v[63:64], v[30:31]
	v_fma_f64 v[59:60], v[59:60], v[63:64], -v[61:62]
	global_load_b128 v[61:64], v[24:25], off
	s_waitcnt vmcnt(1)
	scratch_store_b128 off, v[65:68], off offset:184 ; 16-byte Folded Spill
	s_waitcnt vmcnt(0)
	v_mul_f64 v[4:5], v[63:64], v[67:68]
	v_mul_f64 v[30:31], v[61:62], v[67:68]
	s_delay_alu instid0(VALU_DEP_2) | instskip(SKIP_2) | instid1(VALU_DEP_4)
	v_fma_f64 v[61:62], v[61:62], v[65:66], v[4:5]
	v_add_co_u32 v4, vcc_lo, v24, s3
	v_add_co_ci_u32_e32 v5, vcc_lo, s2, v25, vcc_lo
	v_fma_f64 v[63:64], v[63:64], v[65:66], -v[30:31]
	global_load_b128 v[65:68], v[4:5], off
	v_add_co_u32 v4, vcc_lo, v4, s5
	v_add_co_ci_u32_e32 v5, vcc_lo, s4, v5, vcc_lo
	s_waitcnt vmcnt(0)
	v_mul_f64 v[24:25], v[67:68], v[73:74]
	v_mul_f64 v[30:31], v[65:66], v[73:74]
	global_load_b128 v[73:76], v[69:70], off offset:3104
	v_fma_f64 v[65:66], v[65:66], v[71:72], v[24:25]
	v_fma_f64 v[67:68], v[67:68], v[71:72], -v[30:31]
	global_load_b128 v[69:72], v[4:5], off
	v_add_co_u32 v4, vcc_lo, v4, s3
	v_add_co_ci_u32_e32 v5, vcc_lo, s2, v5, vcc_lo
	s_waitcnt vmcnt(1)
	scratch_store_b128 off, v[73:76], off offset:248 ; 16-byte Folded Spill
	s_waitcnt vmcnt(0)
	v_mul_f64 v[24:25], v[71:72], v[75:76]
	v_mul_f64 v[30:31], v[69:70], v[75:76]
	s_delay_alu instid0(VALU_DEP_2) | instskip(SKIP_2) | instid1(VALU_DEP_4)
	v_fma_f64 v[69:70], v[69:70], v[73:74], v[24:25]
	v_add_co_u32 v24, vcc_lo, 0x5000, v243
	v_add_co_ci_u32_e32 v25, vcc_lo, 0, v107, vcc_lo
	v_fma_f64 v[71:72], v[71:72], v[73:74], -v[30:31]
	global_load_b128 v[73:76], v[4:5], off
	global_load_b128 v[79:82], v[24:25], off offset:1120
	v_add_co_u32 v4, vcc_lo, v4, s3
	v_add_co_ci_u32_e32 v5, vcc_lo, s2, v5, vcc_lo
	global_load_b128 v[89:92], v[24:25], off offset:2560
	s_waitcnt vmcnt(1)
	v_mul_f64 v[30:31], v[75:76], v[81:82]
	v_mul_f64 v[77:78], v[73:74], v[81:82]
	scratch_store_b128 off, v[79:82], off offset:264 ; 16-byte Folded Spill
	global_load_b128 v[81:84], v[14:15], off offset:3232
	v_fma_f64 v[73:74], v[73:74], v[79:80], v[30:31]
	v_fma_f64 v[75:76], v[75:76], v[79:80], -v[77:78]
	global_load_b128 v[77:80], v[4:5], off
	v_add_co_u32 v4, vcc_lo, v4, s5
	v_add_co_ci_u32_e32 v5, vcc_lo, s4, v5, vcc_lo
	s_waitcnt vmcnt(1)
	scratch_store_b128 off, v[81:84], off offset:280 ; 16-byte Folded Spill
	s_waitcnt vmcnt(0)
	v_mul_f64 v[14:15], v[79:80], v[83:84]
	v_mul_f64 v[30:31], v[77:78], v[83:84]
	s_delay_alu instid0(VALU_DEP_2) | instskip(SKIP_2) | instid1(VALU_DEP_4)
	v_fma_f64 v[77:78], v[77:78], v[81:82], v[14:15]
	v_add_co_u32 v14, vcc_lo, 0x2000, v243
	v_add_co_ci_u32_e32 v15, vcc_lo, 0, v107, vcc_lo
	v_fma_f64 v[79:80], v[79:80], v[81:82], -v[30:31]
	global_load_b128 v[81:84], v[4:5], off
	global_load_b128 v[93:96], v[14:15], off offset:448
	v_add_co_u32 v4, vcc_lo, v4, s3
	v_add_co_ci_u32_e32 v5, vcc_lo, s2, v5, vcc_lo
	global_load_b128 v[97:100], v[14:15], off offset:1888
	s_waitcnt vmcnt(1)
	v_mul_f64 v[85:86], v[81:82], v[95:96]
	v_mul_f64 v[30:31], v[83:84], v[95:96]
	scratch_store_b128 off, v[93:96], off offset:312 ; 16-byte Folded Spill
	v_fma_f64 v[83:84], v[83:84], v[93:94], -v[85:86]
	global_load_b128 v[85:88], v[4:5], off
	v_fma_f64 v[81:82], v[81:82], v[93:94], v[30:31]
	v_mov_b32_e32 v94, v92
	v_dual_mov_b32 v93, v91 :: v_dual_mov_b32 v92, v90
	v_mov_b32_e32 v91, v89
	v_add_co_u32 v4, vcc_lo, v4, s3
	v_add_co_ci_u32_e32 v5, vcc_lo, s2, v5, vcc_lo
	scratch_store_b128 off, v[91:94], off offset:328 ; 16-byte Folded Spill
	s_waitcnt vmcnt(0)
	v_mul_f64 v[30:31], v[87:88], v[93:94]
	v_mul_f64 v[89:90], v[85:86], v[93:94]
	s_delay_alu instid0(VALU_DEP_2) | instskip(SKIP_2) | instid1(VALU_DEP_4)
	v_fma_f64 v[85:86], v[85:86], v[91:92], v[30:31]
	v_add_co_u32 v30, vcc_lo, 0x9000, v243
	v_add_co_ci_u32_e32 v31, vcc_lo, 0, v107, vcc_lo
	v_fma_f64 v[87:88], v[87:88], v[91:92], -v[89:90]
	global_load_b128 v[89:92], v[4:5], off
	global_load_b128 v[101:104], v[30:31], off offset:576
	v_add_co_u32 v4, vcc_lo, v4, s5
	v_add_co_ci_u32_e32 v5, vcc_lo, s4, v5, vcc_lo
	s_clause 0x1
	global_load_b128 v[105:108], v[30:31], off offset:2016
	global_load_b128 v[109:112], v[24:25], off offset:4000
	scratch_store_b32 off, v129, off offset:488 ; 4-byte Folded Spill
	s_waitcnt vmcnt(2)
	v_mul_f64 v[93:94], v[91:92], v[103:104]
	v_mul_f64 v[95:96], v[89:90], v[103:104]
	scratch_store_b128 off, v[101:104], off offset:344 ; 16-byte Folded Spill
	s_waitcnt vmcnt(0)
	scratch_store_b128 off, v[109:112], off offset:376 ; 16-byte Folded Spill
	v_fma_f64 v[89:90], v[89:90], v[101:102], v[93:94]
	v_fma_f64 v[91:92], v[91:92], v[101:102], -v[95:96]
	global_load_b128 v[93:96], v[4:5], off
	v_dual_mov_b32 v104, v100 :: v_dual_mov_b32 v103, v99
	v_dual_mov_b32 v102, v98 :: v_dual_mov_b32 v101, v97
	v_add_co_u32 v4, vcc_lo, v4, s3
	v_add_co_ci_u32_e32 v5, vcc_lo, s2, v5, vcc_lo
	scratch_store_b128 off, v[101:104], off offset:360 ; 16-byte Folded Spill
	s_waitcnt vmcnt(0)
	v_mul_f64 v[97:98], v[95:96], v[103:104]
	v_mul_f64 v[99:100], v[93:94], v[103:104]
	s_delay_alu instid0(VALU_DEP_2) | instskip(NEXT) | instid1(VALU_DEP_2)
	v_fma_f64 v[93:94], v[93:94], v[101:102], v[97:98]
	v_fma_f64 v[95:96], v[95:96], v[101:102], -v[99:100]
	global_load_b128 v[97:100], v[4:5], off
	v_add_co_u32 v4, vcc_lo, v4, s3
	v_add_co_ci_u32_e32 v5, vcc_lo, s2, v5, vcc_lo
	s_waitcnt vmcnt(0)
	v_mul_f64 v[101:102], v[97:98], v[111:112]
	v_mul_f64 v[24:25], v[99:100], v[111:112]
	s_delay_alu instid0(VALU_DEP_2)
	v_fma_f64 v[99:100], v[99:100], v[109:110], -v[101:102]
	global_load_b128 v[101:104], v[4:5], off
	v_fma_f64 v[97:98], v[97:98], v[109:110], v[24:25]
	v_mov_b32_e32 v110, v108
	v_dual_mov_b32 v109, v107 :: v_dual_mov_b32 v108, v106
	v_mov_b32_e32 v107, v105
	v_add_co_u32 v4, vcc_lo, v4, s5
	v_add_co_ci_u32_e32 v5, vcc_lo, s4, v5, vcc_lo
	scratch_store_b128 off, v[107:110], off offset:392 ; 16-byte Folded Spill
	s_waitcnt vmcnt(0)
	v_mul_f64 v[24:25], v[103:104], v[109:110]
	v_mul_f64 v[105:106], v[101:102], v[109:110]
	global_load_b128 v[109:112], v[14:15], off offset:3328
	v_fma_f64 v[101:102], v[101:102], v[107:108], v[24:25]
	v_fma_f64 v[103:104], v[103:104], v[107:108], -v[105:106]
	global_load_b128 v[105:108], v[4:5], off
	v_add_co_u32 v4, vcc_lo, v4, s3
	v_add_co_ci_u32_e32 v5, vcc_lo, s2, v5, vcc_lo
	s_waitcnt vmcnt(1)
	scratch_store_b128 off, v[109:112], off offset:408 ; 16-byte Folded Spill
	s_waitcnt vmcnt(0)
	v_mul_f64 v[14:15], v[107:108], v[111:112]
	v_mul_f64 v[24:25], v[105:106], v[111:112]
	s_delay_alu instid0(VALU_DEP_2) | instskip(SKIP_2) | instid1(VALU_DEP_4)
	v_fma_f64 v[105:106], v[105:106], v[109:110], v[14:15]
	v_add_co_u32 v14, vcc_lo, 0x6000, v243
	v_add_co_ci_u32_e32 v15, vcc_lo, 0, v113, vcc_lo
	v_fma_f64 v[107:108], v[107:108], v[109:110], -v[24:25]
	s_clause 0x1
	global_load_b128 v[113:116], v[14:15], off offset:1344
	global_load_b128 v[125:128], v[14:15], off offset:2784
	global_load_b128 v[109:112], v[4:5], off
	v_add_co_u32 v4, vcc_lo, v4, s3
	v_add_co_ci_u32_e32 v5, vcc_lo, s2, v5, vcc_lo
	global_load_b128 v[117:120], v[30:31], off offset:3456
	scratch_store_b128 off, v[121:124], off offset:456 ; 16-byte Folded Spill
	s_waitcnt vmcnt(3)
	scratch_store_b128 off, v[113:116], off offset:424 ; 16-byte Folded Spill
	s_waitcnt vmcnt(2)
	;; [unrolled: 2-line block ×3, first 2 shown]
	v_mul_f64 v[14:15], v[111:112], v[115:116]
	v_mul_f64 v[24:25], v[109:110], v[115:116]
	s_waitcnt vmcnt(0)
	scratch_store_b128 off, v[117:120], off offset:440 ; 16-byte Folded Spill
	v_fma_f64 v[109:110], v[109:110], v[113:114], v[14:15]
	v_fma_f64 v[111:112], v[111:112], v[113:114], -v[24:25]
	global_load_b128 v[113:116], v[4:5], off
	v_add_co_u32 v4, vcc_lo, v4, s5
	v_add_co_ci_u32_e32 v5, vcc_lo, s4, v5, vcc_lo
	s_waitcnt vmcnt(0)
	v_mul_f64 v[14:15], v[115:116], v[119:120]
	v_mul_f64 v[24:25], v[113:114], v[119:120]
	s_delay_alu instid0(VALU_DEP_2) | instskip(NEXT) | instid1(VALU_DEP_2)
	v_fma_f64 v[113:114], v[113:114], v[117:118], v[14:15]
	v_fma_f64 v[115:116], v[115:116], v[117:118], -v[24:25]
	global_load_b128 v[117:120], v[4:5], off
	v_add_co_u32 v4, vcc_lo, v4, s3
	v_add_co_ci_u32_e32 v5, vcc_lo, s2, v5, vcc_lo
	s_waitcnt vmcnt(0)
	v_mul_f64 v[14:15], v[119:120], v[123:124]
	v_mul_f64 v[24:25], v[117:118], v[123:124]
	s_delay_alu instid0(VALU_DEP_2) | instskip(NEXT) | instid1(VALU_DEP_2)
	v_fma_f64 v[117:118], v[117:118], v[121:122], v[14:15]
	v_fma_f64 v[119:120], v[119:120], v[121:122], -v[24:25]
	global_load_b128 v[121:124], v[4:5], off
	v_add_co_u32 v4, vcc_lo, v4, s3
	v_add_co_ci_u32_e32 v5, vcc_lo, s2, v5, vcc_lo
	s_mov_b32 s3, 0xbfebb67a
	s_mov_b32 s2, s8
	s_waitcnt vmcnt(0)
	v_mul_f64 v[14:15], v[123:124], v[127:128]
	v_mul_f64 v[24:25], v[121:122], v[127:128]
	s_delay_alu instid0(VALU_DEP_2) | instskip(SKIP_2) | instid1(VALU_DEP_4)
	v_fma_f64 v[121:122], v[121:122], v[125:126], v[14:15]
	v_add_co_u32 v14, vcc_lo, 0xa000, v243
	v_add_co_ci_u32_e32 v15, vcc_lo, 0, v129, vcc_lo
	v_fma_f64 v[123:124], v[123:124], v[125:126], -v[24:25]
	scratch_store_b64 off, v[14:15], off offset:492 ; 8-byte Folded Spill
	global_load_b128 v[125:128], v[4:5], off
	global_load_b128 v[129:132], v[14:15], off offset:800
	s_waitcnt vmcnt(0)
	v_mul_f64 v[4:5], v[127:128], v[131:132]
	v_mul_f64 v[14:15], v[125:126], v[131:132]
	scratch_store_b128 off, v[129:132], off offset:296 ; 16-byte Folded Spill
	v_fma_f64 v[125:126], v[125:126], v[129:130], v[4:5]
	v_fma_f64 v[127:128], v[127:128], v[129:130], -v[14:15]
	ds_store_b128 v32, v[0:3]
	ds_store_b128 v32, v[26:29] offset:14400
	ds_store_b128 v32, v[6:9] offset:28800
	;; [unrolled: 1-line block ×29, first 2 shown]
	s_load_b128 s[4:7], s[6:7], 0x0
	s_waitcnt lgkmcnt(0)
	s_waitcnt_vscnt null, 0x0
	s_barrier
	buffer_gl0_inv
	ds_load_b128 v[28:31], v32
	ds_load_b128 v[0:3], v32 offset:14400
	ds_load_b128 v[33:36], v32 offset:12960
	;; [unrolled: 1-line block ×5, first 2 shown]
	s_waitcnt lgkmcnt(4)
	v_add_f64 v[4:5], v[28:29], v[0:1]
	v_add_f64 v[10:11], v[30:31], v[2:3]
	s_waitcnt lgkmcnt(1)
	v_add_f64 v[81:82], v[0:1], v[6:7]
	v_add_f64 v[96:97], v[2:3], -v[8:9]
	v_add_f64 v[98:99], v[2:3], v[8:9]
	v_add_f64 v[100:101], v[0:1], -v[6:7]
	s_waitcnt lgkmcnt(0)
	v_add_f64 v[170:171], v[37:38], -v[24:25]
	v_add_f64 v[168:169], v[39:40], -v[26:27]
	v_add_f64 v[92:93], v[4:5], v[6:7]
	v_add_f64 v[94:95], v[10:11], v[8:9]
	ds_load_b128 v[0:3], v32 offset:15840
	ds_load_b128 v[41:44], v32 offset:1440
	;; [unrolled: 1-line block ×6, first 2 shown]
	s_waitcnt lgkmcnt(4)
	v_add_f64 v[4:5], v[41:42], v[0:1]
	v_add_f64 v[18:19], v[43:44], v[2:3]
	s_waitcnt lgkmcnt(1)
	v_add_f64 v[102:103], v[0:1], v[10:11]
	v_add_f64 v[104:105], v[2:3], -v[12:13]
	v_add_f64 v[106:107], v[2:3], v[12:13]
	v_add_f64 v[120:121], v[0:1], -v[10:11]
	v_add_f64 v[0:1], v[45:46], v[6:7]
	v_add_f64 v[2:3], v[47:48], v[8:9]
	s_waitcnt lgkmcnt(0)
	v_add_f64 v[122:123], v[8:9], -v[16:17]
	v_add_f64 v[108:109], v[8:9], v[16:17]
	v_add_f64 v[132:133], v[6:7], -v[14:15]
	v_add_f64 v[88:89], v[4:5], v[10:11]
	v_add_f64 v[4:5], v[6:7], v[14:15]
	v_add_f64 v[90:91], v[18:19], v[12:13]
	v_add_f64 v[84:85], v[0:1], v[14:15]
	v_add_f64 v[86:87], v[2:3], v[16:17]
	ds_load_b128 v[0:3], v32 offset:18720
	ds_load_b128 v[49:52], v32 offset:4320
	;; [unrolled: 1-line block ×6, first 2 shown]
	s_waitcnt lgkmcnt(4)
	v_add_f64 v[18:19], v[49:50], v[0:1]
	v_add_f64 v[20:21], v[51:52], v[2:3]
	s_waitcnt lgkmcnt(1)
	v_add_f64 v[110:111], v[0:1], v[10:11]
	v_add_f64 v[134:135], v[2:3], -v[12:13]
	v_add_f64 v[124:125], v[2:3], v[12:13]
	v_add_f64 v[136:137], v[0:1], -v[10:11]
	s_waitcnt lgkmcnt(0)
	v_add_f64 v[126:127], v[6:7], v[14:15]
	v_add_f64 v[138:139], v[8:9], -v[16:17]
	v_add_f64 v[128:129], v[8:9], v[16:17]
	v_add_f64 v[140:141], v[6:7], -v[14:15]
	v_fma_f64 v[4:5], v[4:5], -0.5, v[45:46]
	v_add_f64 v[0:1], v[18:19], v[10:11]
	v_add_f64 v[2:3], v[20:21], v[12:13]
	;; [unrolled: 1-line block ×4, first 2 shown]
	v_fma_f64 v[45:46], v[126:127], -0.5, v[53:54]
	s_delay_alu instid0(VALU_DEP_3) | instskip(NEXT) | instid1(VALU_DEP_3)
	v_add_f64 v[112:113], v[10:11], v[14:15]
	v_add_f64 v[114:115], v[12:13], v[16:17]
	ds_load_b128 v[6:9], v32 offset:21600
	ds_load_b128 v[57:60], v32 offset:7200
	;; [unrolled: 1-line block ×6, first 2 shown]
	s_waitcnt lgkmcnt(4)
	v_add_f64 v[10:11], v[57:58], v[6:7]
	v_add_f64 v[65:66], v[59:60], v[8:9]
	s_waitcnt lgkmcnt(1)
	v_add_f64 v[130:131], v[6:7], v[16:17]
	v_add_f64 v[142:143], v[8:9], -v[18:19]
	v_add_f64 v[144:145], v[8:9], v[18:19]
	v_add_f64 v[6:7], v[6:7], -v[16:17]
	s_waitcnt lgkmcnt(0)
	v_add_f64 v[146:147], v[12:13], v[20:21]
	v_add_f64 v[148:149], v[14:15], -v[22:23]
	v_add_f64 v[152:153], v[14:15], v[22:23]
	v_add_f64 v[154:155], v[12:13], -v[20:21]
	v_add_f64 v[8:9], v[10:11], v[16:17]
	v_add_f64 v[10:11], v[65:66], v[18:19]
	;; [unrolled: 1-line block ×4, first 2 shown]
	v_fma_f64 v[53:54], v[146:147], -0.5, v[61:62]
	s_delay_alu instid0(VALU_DEP_3) | instskip(NEXT) | instid1(VALU_DEP_3)
	v_add_f64 v[12:13], v[16:17], v[20:21]
	v_add_f64 v[14:15], v[18:19], v[22:23]
	ds_load_b128 v[16:19], v32 offset:24480
	ds_load_b128 v[65:68], v32 offset:10080
	ds_load_b128 v[69:72], v32 offset:11520
	ds_load_b128 v[73:76], v32 offset:25920
	ds_load_b128 v[20:23], v32 offset:38880
	ds_load_b128 v[77:80], v32 offset:40320
	s_waitcnt lgkmcnt(4)
	v_add_f64 v[116:117], v[65:66], v[16:17]
	v_add_f64 v[118:119], v[67:68], v[18:19]
	s_waitcnt lgkmcnt(1)
	v_add_f64 v[156:157], v[16:17], v[20:21]
	v_add_f64 v[158:159], v[18:19], -v[22:23]
	v_add_f64 v[160:161], v[18:19], v[22:23]
	v_add_f64 v[16:17], v[16:17], -v[20:21]
	s_waitcnt lgkmcnt(0)
	v_add_f64 v[162:163], v[73:74], v[77:78]
	v_add_f64 v[166:167], v[73:74], -v[77:78]
	v_add_f64 v[164:165], v[75:76], -v[79:80]
	v_add_f64 v[18:19], v[116:117], v[20:21]
	v_add_f64 v[20:21], v[118:119], v[22:23]
	;; [unrolled: 1-line block ×6, first 2 shown]
	v_fma_f64 v[146:147], v[162:163], -0.5, v[69:70]
	v_add_f64 v[116:117], v[22:23], v[77:78]
	v_add_f64 v[22:23], v[33:34], v[37:38]
	;; [unrolled: 1-line block ×3, first 2 shown]
	v_fma_f64 v[37:38], v[106:107], -0.5, v[43:44]
	v_add_f64 v[118:119], v[118:119], v[79:80]
	v_add_f64 v[79:80], v[39:40], v[26:27]
	v_fma_f64 v[39:40], v[108:109], -0.5, v[47:48]
	v_fma_f64 v[43:44], v[124:125], -0.5, v[51:52]
	v_fma_f64 v[47:48], v[128:129], -0.5, v[55:56]
	v_fma_f64 v[51:52], v[144:145], -0.5, v[59:60]
	v_fma_f64 v[144:145], v[160:161], -0.5, v[67:68]
	v_add_f64 v[26:27], v[73:74], v[26:27]
	v_fma_f64 v[60:61], v[152:153], -0.5, v[63:64]
	v_fma_f64 v[62:63], v[156:157], -0.5, v[65:66]
	;; [unrolled: 1-line block ×3, first 2 shown]
	v_fma_f64 v[72:73], v[138:139], s[8:9], v[45:46]
	v_fma_f64 v[68:69], v[138:139], s[2:3], v[45:46]
	v_add_f64 v[24:25], v[22:23], v[24:25]
	v_fma_f64 v[22:23], v[81:82], -0.5, v[28:29]
	v_fma_f64 v[28:29], v[98:99], -0.5, v[30:31]
	;; [unrolled: 1-line block ×5, first 2 shown]
	v_fma_f64 v[110:111], v[120:121], s[2:3], v[37:38]
	v_fma_f64 v[106:107], v[120:121], s[8:9], v[37:38]
	v_fma_f64 v[33:34], v[77:78], -0.5, v[33:34]
	v_fma_f64 v[156:157], v[79:80], -0.5, v[35:36]
	v_fma_f64 v[74:75], v[140:141], s[2:3], v[47:48]
	v_fma_f64 v[70:71], v[140:141], s[8:9], v[47:48]
	;; [unrolled: 1-line block ×25, first 2 shown]
	v_mul_lo_u16 v16, v151, 3
	v_fma_f64 v[100:101], v[122:123], s[8:9], v[4:5]
	v_fma_f64 v[96:97], v[122:123], s[2:3], v[4:5]
	v_add_co_u32 v17, null, 0x5a, v150
	s_delay_alu instid0(VALU_DEP_4) | instskip(SKIP_3) | instid1(VALU_DEP_4)
	v_and_b32_e32 v16, 0xffff, v16
	v_add_co_u32 v22, s12, 0x10e, v150
	v_fma_f64 v[64:65], v[142:143], s[8:9], v[49:50]
	v_fma_f64 v[136:137], v[142:143], s[2:3], v[49:50]
	v_lshlrev_b32_e32 v16, 4, v16
	v_fma_f64 v[4:5], v[148:149], s[2:3], v[53:54]
	v_fma_f64 v[40:41], v[164:165], s[8:9], v[146:147]
	;; [unrolled: 1-line block ×4, first 2 shown]
	scratch_store_b32 off, v16, off offset:504 ; 4-byte Folded Spill
	s_waitcnt_vscnt null, 0x0
	s_barrier
	buffer_gl0_inv
	ds_store_b128 v16, v[92:95]
	ds_store_b128 v16, v[124:127] offset:16
	ds_store_b128 v16, v[128:131] offset:32
	v_mul_u32_u24_e32 v16, 3, v17
	v_fma_f64 v[50:51], v[170:171], s[2:3], v[156:157]
	v_fma_f64 v[28:29], v[168:169], s[2:3], v[33:34]
	;; [unrolled: 1-line block ×3, first 2 shown]
	s_delay_alu instid0(VALU_DEP_4)
	v_lshlrev_b32_e32 v16, 4, v16
	ds_store_b128 v16, v[88:91]
	ds_store_b128 v16, v[108:111] offset:16
	v_add_co_u32 v109, null, 0xb4, v150
	scratch_store_b32 off, v16, off offset:508 ; 4-byte Folded Spill
	ds_store_b128 v16, v[104:107] offset:32
	v_mul_u32_u24_e32 v16, 3, v109
	v_dual_mov_b32 v158, v109 :: v_dual_and_b32 v157, 0xffff, v109
	s_delay_alu instid0(VALU_DEP_2)
	v_lshlrev_b32_e32 v16, 4, v16
	scratch_store_b32 off, v16, off offset:500 ; 4-byte Folded Spill
	ds_store_b128 v16, v[84:87]
	ds_store_b128 v16, v[100:103] offset:16
	ds_store_b128 v16, v[96:99] offset:32
	v_add_co_ci_u32_e64 v16, null, 0, 0, s12
	s_clause 0x1
	scratch_store_b32 off, v22, off offset:832
	scratch_store_b32 off, v16, off offset:576
	v_mul_u32_u24_e32 v16, 3, v22
	s_delay_alu instid0(VALU_DEP_1)
	v_lshlrev_b32_e32 v16, 4, v16
	scratch_store_b32 off, v16, off offset:1772 ; 4-byte Folded Spill
	ds_store_b128 v16, v[0:3]
	ds_store_b128 v16, v[80:83] offset:16
	ds_store_b128 v16, v[76:79] offset:32
	v_add_nc_u32_e32 v0, 0x168, v150
	s_clause 0x1
	scratch_store_b32 off, v150, off offset:1780
	scratch_store_b32 off, v0, off offset:864
	v_mul_u32_u24_e32 v0, 3, v0
	s_delay_alu instid0(VALU_DEP_1)
	v_lshlrev_b32_e32 v0, 4, v0
	scratch_store_b32 off, v0, off offset:1768 ; 4-byte Folded Spill
	ds_store_b128 v0, v[112:115]
	ds_store_b128 v0, v[72:75] offset:16
	ds_store_b128 v0, v[68:71] offset:32
	v_add_nc_u32_e32 v0, 0x1c2, v150
	scratch_store_b32 off, v0, off offset:928 ; 4-byte Folded Spill
	v_mul_u32_u24_e32 v0, 3, v0
	s_delay_alu instid0(VALU_DEP_1)
	v_lshlrev_b32_e32 v0, 4, v0
	scratch_store_b32 off, v0, off offset:1764 ; 4-byte Folded Spill
	ds_store_b128 v0, v[8:11]
	ds_store_b128 v0, v[64:67] offset:16
	ds_store_b128 v0, v[136:139] offset:32
	v_add_co_u32 v0, null, 0x21c, v150
	scratch_store_b32 off, v0, off offset:960 ; 4-byte Folded Spill
	v_mul_u32_u24_e32 v0, 3, v0
	s_delay_alu instid0(VALU_DEP_1)
	v_lshlrev_b32_e32 v0, 4, v0
	scratch_store_b32 off, v0, off offset:1760 ; 4-byte Folded Spill
	ds_store_b128 v0, v[12:15]
	ds_store_b128 v0, v[56:59] offset:16
	ds_store_b128 v0, v[4:7] offset:32
	v_add_co_u32 v0, null, 0x276, v150
	;; [unrolled: 9-line block ×4, first 2 shown]
	v_mov_b32_e32 v150, v17
	scratch_store_b32 off, v0, off offset:1776 ; 4-byte Folded Spill
	v_mul_u32_u24_e32 v0, 3, v0
	s_delay_alu instid0(VALU_DEP_1)
	v_lshlrev_b32_e32 v0, 4, v0
	scratch_store_b32 off, v0, off offset:1748 ; 4-byte Folded Spill
	ds_store_b128 v0, v[24:27]
	ds_store_b128 v0, v[48:51] offset:16
	ds_store_b128 v0, v[28:31] offset:32
	v_and_b32_e32 v0, 0xff, v151
	s_waitcnt lgkmcnt(0)
	s_waitcnt_vscnt null, 0x0
	s_barrier
	buffer_gl0_inv
	v_mul_lo_u16 v1, 0xab, v0
	s_delay_alu instid0(VALU_DEP_1) | instskip(NEXT) | instid1(VALU_DEP_1)
	v_lshrrev_b16 v104, 9, v1
	v_mul_lo_u16 v1, v104, 3
	s_delay_alu instid0(VALU_DEP_1) | instskip(NEXT) | instid1(VALU_DEP_1)
	v_sub_nc_u16 v1, v151, v1
	v_and_b32_e32 v119, 0xff, v1
	s_delay_alu instid0(VALU_DEP_1)
	v_mad_u64_u32 v[4:5], null, 0x90, v119, s[10:11]
	s_clause 0x1
	global_load_b128 v[22:25], v[4:5], off
	global_load_b128 v[28:31], v[4:5], off offset:16
	s_waitcnt vmcnt(1)
	scratch_store_b128 off, v[22:25], off offset:1732 ; 16-byte Folded Spill
	s_waitcnt vmcnt(0)
	scratch_store_b128 off, v[28:31], off offset:1556 ; 16-byte Folded Spill
	ds_load_b128 v[13:16], v32 offset:4320
	ds_load_b128 v[18:21], v32 offset:5760
	s_waitcnt lgkmcnt(1)
	v_mul_f64 v[1:2], v[15:16], v[24:25]
	s_delay_alu instid0(VALU_DEP_1) | instskip(SKIP_1) | instid1(VALU_DEP_1)
	v_fma_f64 v[8:9], v[13:14], v[22:23], -v[1:2]
	v_mul_f64 v[1:2], v[13:14], v[24:25]
	v_fma_f64 v[10:11], v[15:16], v[22:23], v[1:2]
	ds_load_b128 v[13:16], v32 offset:8640
	ds_load_b128 v[24:27], v32 offset:7200
	s_clause 0x1
	global_load_b128 v[39:42], v[4:5], off offset:32
	global_load_b128 v[35:38], v[4:5], off offset:48
	s_waitcnt lgkmcnt(1)
	v_mul_f64 v[1:2], v[15:16], v[30:31]
	s_delay_alu instid0(VALU_DEP_1) | instskip(SKIP_1) | instid1(VALU_DEP_1)
	v_fma_f64 v[22:23], v[13:14], v[28:29], -v[1:2]
	v_mul_f64 v[1:2], v[13:14], v[30:31]
	v_fma_f64 v[33:34], v[15:16], v[28:29], v[1:2]
	s_waitcnt vmcnt(1)
	scratch_store_b128 off, v[39:42], off offset:1588 ; 16-byte Folded Spill
	s_waitcnt vmcnt(0)
	scratch_store_b128 off, v[35:38], off offset:1492 ; 16-byte Folded Spill
	ds_load_b128 v[13:16], v32 offset:12960
	ds_load_b128 v[28:31], v32 offset:14400
	s_waitcnt lgkmcnt(1)
	v_mul_f64 v[1:2], v[15:16], v[41:42]
	s_delay_alu instid0(VALU_DEP_1) | instskip(SKIP_1) | instid1(VALU_DEP_1)
	v_fma_f64 v[48:49], v[13:14], v[39:40], -v[1:2]
	v_mul_f64 v[1:2], v[13:14], v[41:42]
	v_fma_f64 v[50:51], v[15:16], v[39:40], v[1:2]
	ds_load_b128 v[13:16], v32 offset:17280
	ds_load_b128 v[44:47], v32 offset:15840
	s_clause 0x1
	global_load_b128 v[58:61], v[4:5], off offset:64
	global_load_b128 v[40:43], v[4:5], off offset:80
	s_waitcnt lgkmcnt(1)
	v_mul_f64 v[1:2], v[15:16], v[37:38]
	s_delay_alu instid0(VALU_DEP_1) | instskip(SKIP_1) | instid1(VALU_DEP_1)
	v_fma_f64 v[52:53], v[13:14], v[35:36], -v[1:2]
	v_mul_f64 v[1:2], v[13:14], v[37:38]
	v_fma_f64 v[54:55], v[15:16], v[35:36], v[1:2]
	s_waitcnt vmcnt(1)
	scratch_store_b128 off, v[58:61], off offset:1540 ; 16-byte Folded Spill
	s_waitcnt vmcnt(0)
	scratch_store_b128 off, v[40:43], off offset:1332 ; 16-byte Folded Spill
	ds_load_b128 v[13:16], v32 offset:21600
	ds_load_b128 v[36:39], v32 offset:23040
	s_waitcnt lgkmcnt(1)
	v_mul_f64 v[1:2], v[15:16], v[60:61]
	s_delay_alu instid0(VALU_DEP_1) | instskip(SKIP_1) | instid1(VALU_DEP_1)
	v_fma_f64 v[56:57], v[13:14], v[58:59], -v[1:2]
	v_mul_f64 v[1:2], v[13:14], v[60:61]
	v_fma_f64 v[58:59], v[15:16], v[58:59], v[1:2]
	ds_load_b128 v[13:16], v32 offset:25920
	ds_load_b128 v[84:87], v32 offset:24480
	s_clause 0x1
	global_load_b128 v[66:69], v[4:5], off offset:96
	global_load_b128 v[72:75], v[4:5], off offset:112
	s_waitcnt lgkmcnt(1)
	v_mul_f64 v[1:2], v[15:16], v[42:43]
	s_delay_alu instid0(VALU_DEP_1) | instskip(SKIP_1) | instid1(VALU_DEP_2)
	v_fma_f64 v[60:61], v[13:14], v[40:41], -v[1:2]
	v_mul_f64 v[1:2], v[13:14], v[42:43]
	v_add_f64 v[207:208], v[52:53], -v[60:61]
	s_delay_alu instid0(VALU_DEP_2) | instskip(NEXT) | instid1(VALU_DEP_1)
	v_fma_f64 v[62:63], v[15:16], v[40:41], v[1:2]
	v_add_f64 v[199:200], v[54:55], -v[62:63]
	s_waitcnt vmcnt(1)
	scratch_store_b128 off, v[66:69], off offset:1380 ; 16-byte Folded Spill
	s_waitcnt vmcnt(0)
	scratch_store_b128 off, v[72:75], off offset:1316 ; 16-byte Folded Spill
	ds_load_b128 v[13:16], v32 offset:30240
	ds_load_b128 v[40:43], v32 offset:31680
	s_waitcnt lgkmcnt(1)
	v_mul_f64 v[1:2], v[15:16], v[68:69]
	s_delay_alu instid0(VALU_DEP_1) | instskip(SKIP_1) | instid1(VALU_DEP_2)
	v_fma_f64 v[64:65], v[13:14], v[66:67], -v[1:2]
	v_mul_f64 v[1:2], v[13:14], v[68:69]
	v_add_f64 v[187:188], v[56:57], -v[64:65]
	s_delay_alu instid0(VALU_DEP_2)
	v_fma_f64 v[66:67], v[15:16], v[66:67], v[1:2]
	ds_load_b128 v[13:16], v32 offset:34560
	ds_load_b128 v[125:128], v32 offset:33120
	global_load_b128 v[80:83], v[4:5], off offset:128
	s_waitcnt lgkmcnt(1)
	v_mul_f64 v[1:2], v[15:16], v[74:75]
	v_add_f64 v[191:192], v[58:59], -v[66:67]
	s_delay_alu instid0(VALU_DEP_2) | instskip(SKIP_1) | instid1(VALU_DEP_2)
	v_fma_f64 v[68:69], v[13:14], v[72:73], -v[1:2]
	v_mul_f64 v[1:2], v[13:14], v[74:75]
	v_add_f64 v[201:202], v[22:23], -v[68:69]
	s_delay_alu instid0(VALU_DEP_2) | instskip(SKIP_1) | instid1(VALU_DEP_1)
	v_fma_f64 v[70:71], v[15:16], v[72:73], v[1:2]
	v_and_b32_e32 v1, 0xff, v17
	v_mul_lo_u16 v2, 0xab, v1
	s_delay_alu instid0(VALU_DEP_1) | instskip(NEXT) | instid1(VALU_DEP_1)
	v_lshrrev_b16 v3, 9, v2
	v_mul_lo_u16 v2, v3, 3
	s_delay_alu instid0(VALU_DEP_1) | instskip(NEXT) | instid1(VALU_DEP_1)
	v_sub_nc_u16 v2, v17, v2
	v_and_b32_e32 v6, 0xff, v2
	v_mul_u32_u24_e32 v2, 0xaaab, v157
	s_delay_alu instid0(VALU_DEP_2) | instskip(NEXT) | instid1(VALU_DEP_2)
	v_mad_u64_u32 v[4:5], null, 0x90, v6, s[10:11]
	v_lshrrev_b32_e32 v7, 17, v2
	v_add_f64 v[193:194], v[33:34], -v[70:71]
	global_load_b128 v[76:79], v[4:5], off
	v_mul_lo_u16 v2, v7, 3
	s_delay_alu instid0(VALU_DEP_1) | instskip(NEXT) | instid1(VALU_DEP_1)
	v_sub_nc_u16 v124, v109, v2
	v_mul_lo_u16 v2, 0x90, v124
	s_delay_alu instid0(VALU_DEP_1)
	v_and_b32_e32 v2, 0xffff, v2
	s_waitcnt vmcnt(1)
	scratch_store_b128 off, v[80:83], off offset:1348 ; 16-byte Folded Spill
	ds_load_b128 v[13:16], v32 offset:38880
	ds_load_b128 v[112:115], v32 offset:40320
	s_clause 0x1
	global_load_b128 v[92:95], v[4:5], off offset:16
	global_load_b128 v[88:91], v[4:5], off offset:32
	s_waitcnt lgkmcnt(1)
	v_mul_f64 v[72:73], v[15:16], v[82:83]
	s_delay_alu instid0(VALU_DEP_1) | instskip(SKIP_1) | instid1(VALU_DEP_2)
	v_fma_f64 v[72:73], v[13:14], v[80:81], -v[72:73]
	v_mul_f64 v[12:13], v[13:14], v[82:83]
	v_add_f64 v[185:186], v[48:49], -v[72:73]
	s_delay_alu instid0(VALU_DEP_2) | instskip(SKIP_4) | instid1(VALU_DEP_4)
	v_fma_f64 v[74:75], v[15:16], v[80:81], v[12:13]
	s_waitcnt vmcnt(2)
	v_mov_b32_e32 v14, v76
	v_dual_mov_b32 v16, v78 :: v_dual_mov_b32 v17, v79
	v_mov_b32_e32 v15, v77
	v_add_f64 v[189:190], v[50:51], -v[74:75]
	s_delay_alu instid0(VALU_DEP_3) | instskip(SKIP_3) | instid1(VALU_DEP_1)
	v_mul_f64 v[12:13], v[20:21], v[16:17]
	scratch_store_b128 off, v[14:17], off offset:1364 ; 16-byte Folded Spill
	v_fma_f64 v[76:77], v[18:19], v[14:15], -v[12:13]
	v_mul_f64 v[12:13], v[18:19], v[16:17]
	v_fma_f64 v[78:79], v[20:21], v[14:15], v[12:13]
	s_waitcnt vmcnt(1)
	scratch_store_b128 off, v[92:95], off offset:1396 ; 16-byte Folded Spill
	ds_load_b128 v[13:16], v32 offset:10080
	ds_load_b128 v[18:21], v32 offset:11520
	s_clause 0x1
	global_load_b128 v[100:103], v[4:5], off offset:48
	global_load_b128 v[96:99], v[4:5], off offset:64
	s_waitcnt lgkmcnt(1)
	v_mul_f64 v[80:81], v[15:16], v[94:95]
	s_delay_alu instid0(VALU_DEP_1) | instskip(SKIP_1) | instid1(VALU_DEP_1)
	v_fma_f64 v[80:81], v[13:14], v[92:93], -v[80:81]
	v_mul_f64 v[12:13], v[13:14], v[94:95]
	v_fma_f64 v[82:83], v[15:16], v[92:93], v[12:13]
	s_waitcnt vmcnt(2)
	v_mov_b32_e32 v14, v88
	v_dual_mov_b32 v16, v90 :: v_dual_mov_b32 v17, v91
	v_mov_b32_e32 v15, v89
	s_delay_alu instid0(VALU_DEP_2) | instskip(SKIP_3) | instid1(VALU_DEP_1)
	v_mul_f64 v[12:13], v[30:31], v[16:17]
	scratch_store_b128 off, v[14:17], off offset:1412 ; 16-byte Folded Spill
	v_fma_f64 v[88:89], v[28:29], v[14:15], -v[12:13]
	v_mul_f64 v[12:13], v[28:29], v[16:17]
	v_fma_f64 v[90:91], v[30:31], v[14:15], v[12:13]
	s_delay_alu instid0(VALU_DEP_1)
	v_add_f64 v[143:144], v[78:79], v[90:91]
	s_waitcnt vmcnt(1)
	scratch_store_b128 off, v[100:103], off offset:1428 ; 16-byte Folded Spill
	ds_load_b128 v[13:16], v32 offset:18720
	ds_load_b128 v[28:31], v32 offset:20160
	global_load_b128 v[105:108], v[4:5], off offset:80
	s_waitcnt lgkmcnt(1)
	v_mul_f64 v[92:93], v[15:16], v[102:103]
	s_delay_alu instid0(VALU_DEP_1) | instskip(SKIP_1) | instid1(VALU_DEP_1)
	v_fma_f64 v[92:93], v[13:14], v[100:101], -v[92:93]
	v_mul_f64 v[12:13], v[13:14], v[102:103]
	v_fma_f64 v[94:95], v[15:16], v[100:101], v[12:13]
	s_waitcnt vmcnt(1)
	v_mov_b32_e32 v14, v96
	v_dual_mov_b32 v16, v98 :: v_dual_mov_b32 v17, v99
	global_load_b128 v[100:103], v[4:5], off offset:96
	v_mov_b32_e32 v15, v97
	v_mul_f64 v[12:13], v[38:39], v[16:17]
	scratch_store_b128 off, v[14:17], off offset:1460 ; 16-byte Folded Spill
	v_fma_f64 v[96:97], v[36:37], v[14:15], -v[12:13]
	v_mul_f64 v[12:13], v[36:37], v[16:17]
	s_delay_alu instid0(VALU_DEP_1) | instskip(NEXT) | instid1(VALU_DEP_1)
	v_fma_f64 v[35:36], v[38:39], v[14:15], v[12:13]
	v_add_f64 v[143:144], v[143:144], v[35:36]
	s_waitcnt vmcnt(1)
	scratch_store_b128 off, v[105:108], off offset:1508 ; 16-byte Folded Spill
	ds_load_b128 v[13:16], v32 offset:27360
	ds_load_b128 v[129:132], v32 offset:28800
	global_load_b128 v[120:123], v[4:5], off offset:112
	s_waitcnt lgkmcnt(1)
	v_mul_f64 v[37:38], v[15:16], v[107:108]
	s_delay_alu instid0(VALU_DEP_1) | instskip(SKIP_1) | instid1(VALU_DEP_2)
	v_fma_f64 v[37:38], v[13:14], v[105:106], -v[37:38]
	v_mul_f64 v[12:13], v[13:14], v[107:108]
	v_add_f64 v[141:142], v[92:93], v[37:38]
	s_delay_alu instid0(VALU_DEP_2)
	v_fma_f64 v[98:99], v[15:16], v[105:106], v[12:13]
	global_load_b128 v[105:108], v[4:5], off offset:128
	s_waitcnt vmcnt(2)
	v_mov_b32_e32 v14, v100
	v_dual_mov_b32 v16, v102 :: v_dual_mov_b32 v17, v103
	v_mov_b32_e32 v15, v101
	s_delay_alu instid0(VALU_DEP_2)
	v_mul_f64 v[12:13], v[42:43], v[16:17]
	scratch_store_b128 off, v[14:17], off offset:1524 ; 16-byte Folded Spill
	v_fma_f64 v[100:101], v[40:41], v[14:15], -v[12:13]
	v_mul_f64 v[12:13], v[40:41], v[16:17]
	v_add_co_u32 v41, s12, s10, v2
	v_and_b32_e32 v2, 0xffff, v104
	s_delay_alu instid0(VALU_DEP_1) | instskip(NEXT) | instid1(VALU_DEP_1)
	v_mul_u32_u24_e32 v2, 30, v2
	v_add_lshl_u32 v2, v2, v119, 4
	v_fma_f64 v[39:40], v[42:43], v[14:15], v[12:13]
	v_add_co_ci_u32_e64 v42, null, s11, 0, s12
	s_mov_b32 s12, 0x4755a5e
	s_mov_b32 s13, 0x3fe2cf23
	;; [unrolled: 1-line block ×3, first 2 shown]
	s_delay_alu instid0(VALU_DEP_2)
	v_add_f64 v[143:144], v[143:144], v[39:40]
	s_waitcnt vmcnt(1)
	scratch_store_b128 off, v[120:123], off offset:1444 ; 16-byte Folded Spill
	ds_load_b128 v[13:16], v32 offset:36000
	ds_load_b128 v[133:136], v32 offset:37440
	s_waitcnt lgkmcnt(1)
	v_mul_f64 v[4:5], v[15:16], v[122:123]
	s_delay_alu instid0(VALU_DEP_1) | instskip(SKIP_1) | instid1(VALU_DEP_1)
	v_fma_f64 v[4:5], v[13:14], v[120:121], -v[4:5]
	v_mul_f64 v[12:13], v[13:14], v[122:123]
	v_fma_f64 v[12:13], v[15:16], v[120:121], v[12:13]
	s_waitcnt vmcnt(0)
	v_mul_f64 v[14:15], v[114:115], v[107:108]
	v_mul_f64 v[16:17], v[112:113], v[107:108]
	global_load_b128 v[120:123], v[41:42], off offset:128
	scratch_store_b128 off, v[105:108], off offset:1476 ; 16-byte Folded Spill
	v_fma_f64 v[14:15], v[112:113], v[105:106], -v[14:15]
	global_load_b128 v[109:112], v[41:42], off
	v_fma_f64 v[16:17], v[114:115], v[105:106], v[16:17]
	s_clause 0x1
	global_load_b128 v[105:108], v[41:42], off offset:16
	global_load_b128 v[115:118], v[41:42], off offset:96
	v_add_f64 v[143:144], v[143:144], v[16:17]
	s_waitcnt vmcnt(3)
	scratch_store_b128 off, v[120:123], off offset:1572 ; 16-byte Folded Spill
	s_waitcnt vmcnt(2)
	v_mul_f64 v[102:103], v[26:27], v[111:112]
	scratch_store_b128 off, v[109:112], off offset:1604 ; 16-byte Folded Spill
	s_waitcnt vmcnt(1)
	scratch_store_b128 off, v[105:108], off offset:1620 ; 16-byte Folded Spill
	s_waitcnt vmcnt(0)
	scratch_store_b128 off, v[115:118], off offset:1700 ; 16-byte Folded Spill
	v_fma_f64 v[102:103], v[24:25], v[109:110], -v[102:103]
	v_mul_f64 v[24:25], v[24:25], v[111:112]
	s_delay_alu instid0(VALU_DEP_1) | instskip(SKIP_2) | instid1(VALU_DEP_1)
	v_fma_f64 v[24:25], v[26:27], v[109:110], v[24:25]
	global_load_b128 v[109:112], v[41:42], off offset:32
	v_mul_f64 v[26:27], v[20:21], v[107:108]
	v_fma_f64 v[26:27], v[18:19], v[105:106], -v[26:27]
	v_mul_f64 v[18:19], v[18:19], v[107:108]
	s_delay_alu instid0(VALU_DEP_1)
	v_fma_f64 v[18:19], v[20:21], v[105:106], v[18:19]
	global_load_b128 v[105:108], v[41:42], off offset:48
	s_waitcnt vmcnt(1)
	v_mul_f64 v[20:21], v[46:47], v[111:112]
	scratch_store_b128 off, v[109:112], off offset:1636 ; 16-byte Folded Spill
	v_fma_f64 v[20:21], v[44:45], v[109:110], -v[20:21]
	v_mul_f64 v[43:44], v[44:45], v[111:112]
	s_delay_alu instid0(VALU_DEP_1) | instskip(SKIP_4) | instid1(VALU_DEP_1)
	v_fma_f64 v[43:44], v[46:47], v[109:110], v[43:44]
	global_load_b128 v[109:112], v[41:42], off offset:64
	s_waitcnt vmcnt(1)
	scratch_store_b128 off, v[105:108], off offset:1652 ; 16-byte Folded Spill
	v_mul_f64 v[45:46], v[30:31], v[107:108]
	v_fma_f64 v[45:46], v[28:29], v[105:106], -v[45:46]
	v_mul_f64 v[28:29], v[28:29], v[107:108]
	s_delay_alu instid0(VALU_DEP_1)
	v_fma_f64 v[28:29], v[30:31], v[105:106], v[28:29]
	global_load_b128 v[105:108], v[41:42], off offset:80
	s_waitcnt vmcnt(1)
	v_mul_f64 v[30:31], v[86:87], v[111:112]
	scratch_store_b128 off, v[109:112], off offset:1668 ; 16-byte Folded Spill
	v_fma_f64 v[30:31], v[84:85], v[109:110], -v[30:31]
	v_mul_f64 v[84:85], v[84:85], v[111:112]
	global_load_b128 v[111:114], v[41:42], off offset:112
	v_fma_f64 v[84:85], v[86:87], v[109:110], v[84:85]
	s_waitcnt vmcnt(1)
	v_mov_b32_e32 v110, v108
	v_dual_mov_b32 v109, v107 :: v_dual_mov_b32 v108, v106
	v_mov_b32_e32 v107, v105
	s_delay_alu instid0(VALU_DEP_2)
	v_mul_f64 v[86:87], v[131:132], v[109:110]
	v_mul_f64 v[105:106], v[129:130], v[109:110]
	scratch_store_b128 off, v[107:110], off offset:1684 ; 16-byte Folded Spill
	v_mul_f64 v[109:110], v[125:126], v[117:118]
	v_fma_f64 v[86:87], v[129:130], v[107:108], -v[86:87]
	v_fma_f64 v[105:106], v[131:132], v[107:108], v[105:106]
	v_mul_f64 v[107:108], v[127:128], v[117:118]
	s_delay_alu instid0(VALU_DEP_4) | instskip(NEXT) | instid1(VALU_DEP_2)
	v_fma_f64 v[109:110], v[127:128], v[115:116], v[109:110]
	v_fma_f64 v[107:108], v[125:126], v[115:116], -v[107:108]
	s_waitcnt vmcnt(0)
	v_dual_mov_b32 v118, v114 :: v_dual_mov_b32 v117, v113
	v_dual_mov_b32 v116, v112 :: v_dual_mov_b32 v115, v111
	v_mul_lo_u16 v0, 0x89, v0
	s_waitcnt lgkmcnt(0)
	s_delay_alu instid0(VALU_DEP_3)
	v_mul_f64 v[111:112], v[135:136], v[117:118]
	v_mul_f64 v[113:114], v[133:134], v[117:118]
	scratch_store_b128 off, v[115:118], off offset:1716 ; 16-byte Folded Spill
	ds_load_b128 v[125:128], v32 offset:41760
	ds_load_b128 v[129:132], v32
	v_add_f64 v[117:118], v[52:53], v[60:61]
	s_waitcnt lgkmcnt(1)
	v_mul_f64 v[41:42], v[127:128], v[122:123]
	v_fma_f64 v[111:112], v[133:134], v[115:116], -v[111:112]
	v_fma_f64 v[113:114], v[135:136], v[115:116], v[113:114]
	v_mul_f64 v[115:116], v[125:126], v[122:123]
	s_waitcnt lgkmcnt(0)
	v_fma_f64 v[117:118], v[117:118], -0.5, v[129:130]
	v_fma_f64 v[41:42], v[125:126], v[120:121], -v[41:42]
	v_add_f64 v[125:126], v[22:23], v[68:69]
	s_delay_alu instid0(VALU_DEP_4) | instskip(SKIP_1) | instid1(VALU_DEP_3)
	v_fma_f64 v[115:116], v[127:128], v[120:121], v[115:116]
	v_add_f64 v[127:128], v[131:132], v[33:34]
	v_fma_f64 v[163:164], v[125:126], -0.5, v[129:130]
	v_add_f64 v[125:126], v[54:55], v[62:63]
	s_delay_alu instid0(VALU_DEP_3) | instskip(NEXT) | instid1(VALU_DEP_2)
	v_add_f64 v[127:128], v[127:128], v[54:55]
	v_fma_f64 v[171:172], v[125:126], -0.5, v[131:132]
	v_add_f64 v[125:126], v[33:34], v[70:71]
	s_delay_alu instid0(VALU_DEP_3) | instskip(NEXT) | instid1(VALU_DEP_2)
	v_add_f64 v[127:128], v[127:128], v[62:63]
	v_fma_f64 v[165:166], v[125:126], -0.5, v[131:132]
	v_add_f64 v[125:126], v[129:130], v[22:23]
	v_add_f64 v[129:130], v[8:9], v[48:49]
	;; [unrolled: 1-line block ×4, first 2 shown]
	s_delay_alu instid0(VALU_DEP_4) | instskip(NEXT) | instid1(VALU_DEP_4)
	v_add_f64 v[125:126], v[125:126], v[52:53]
	v_add_f64 v[129:130], v[129:130], v[56:57]
	s_delay_alu instid0(VALU_DEP_4) | instskip(NEXT) | instid1(VALU_DEP_3)
	v_add_f64 v[131:132], v[131:132], v[58:59]
	v_add_f64 v[125:126], v[125:126], v[60:61]
	s_delay_alu instid0(VALU_DEP_3) | instskip(NEXT) | instid1(VALU_DEP_3)
	v_add_f64 v[129:130], v[129:130], v[64:65]
	v_add_f64 v[131:132], v[131:132], v[66:67]
	s_delay_alu instid0(VALU_DEP_3) | instskip(NEXT) | instid1(VALU_DEP_3)
	v_add_f64 v[133:134], v[125:126], v[68:69]
	v_add_f64 v[129:130], v[129:130], v[72:73]
	s_delay_alu instid0(VALU_DEP_3) | instskip(NEXT) | instid1(VALU_DEP_2)
	v_add_f64 v[131:132], v[131:132], v[74:75]
	v_add_f64 v[125:126], v[133:134], v[129:130]
	s_delay_alu instid0(VALU_DEP_2)
	v_add_f64 v[127:128], v[135:136], v[131:132]
	v_add_f64 v[129:130], v[133:134], -v[129:130]
	v_add_f64 v[131:132], v[135:136], -v[131:132]
	ds_load_b128 v[133:136], v32 offset:1440
	ds_load_b128 v[137:140], v32 offset:2880
	s_waitcnt lgkmcnt(0)
	s_waitcnt_vscnt null, 0x0
	s_barrier
	buffer_gl0_inv
	ds_store_b128 v2, v[125:128]
	ds_store_b128 v2, v[129:132] offset:240
	v_fma_f64 v[203:204], v[141:142], -0.5, v[133:134]
	v_add_f64 v[141:142], v[80:81], v[4:5]
	v_add_f64 v[125:126], v[22:23], -v[52:53]
	v_add_f64 v[127:128], v[68:69], -v[60:61]
	;; [unrolled: 1-line block ×5, first 2 shown]
	scratch_store_b32 off, v2, off offset:1312 ; 4-byte Folded Spill
	v_fma_f64 v[195:196], v[141:142], -0.5, v[133:134]
	v_add_f64 v[141:142], v[94:95], v[98:99]
	v_add_f64 v[173:174], v[125:126], v[127:128]
	v_add_f64 v[125:126], v[33:34], -v[54:55]
	v_add_f64 v[127:128], v[70:71], -v[62:63]
	v_add_f64 v[133:134], v[133:134], v[80:81]
	v_add_f64 v[33:34], v[54:55], -v[33:34]
	v_add_f64 v[54:55], v[62:63], -v[70:71]
	;; [unrolled: 1-line block ×3, first 2 shown]
	v_add_f64 v[22:23], v[22:23], v[52:53]
	v_add_f64 v[69:70], v[80:81], -v[4:5]
	v_fma_f64 v[205:206], v[141:142], -0.5, v[135:136]
	v_add_f64 v[141:142], v[82:83], v[12:13]
	v_add_f64 v[175:176], v[125:126], v[127:128]
	v_add_f64 v[125:126], v[48:49], -v[56:57]
	v_add_f64 v[127:128], v[72:73], -v[64:65]
	v_add_f64 v[133:134], v[133:134], v[92:93]
	v_add_f64 v[33:34], v[33:34], v[54:55]
	v_fma_f64 v[197:198], v[141:142], -0.5, v[135:136]
	v_add_f64 v[141:142], v[76:77], v[88:89]
	v_add_f64 v[135:136], v[135:136], v[82:83]
	v_add_f64 v[177:178], v[125:126], v[127:128]
	v_add_f64 v[125:126], v[50:51], -v[58:59]
	v_add_f64 v[127:128], v[74:75], -v[66:67]
	v_add_f64 v[133:134], v[133:134], v[37:38]
	v_add_f64 v[141:142], v[141:142], v[96:97]
	;; [unrolled: 1-line block ×3, first 2 shown]
	s_delay_alu instid0(VALU_DEP_4)
	v_add_f64 v[179:180], v[125:126], v[127:128]
	v_add_f64 v[125:126], v[56:57], v[64:65]
	;; [unrolled: 1-line block ×3, first 2 shown]
	v_add_f64 v[56:57], v[56:57], -v[48:49]
	v_add_f64 v[47:48], v[48:49], v[72:73]
	v_add_f64 v[71:72], v[92:93], -v[37:38]
	v_add_f64 v[141:142], v[141:142], v[100:101]
	v_add_f64 v[135:136], v[135:136], v[98:99]
	v_fma_f64 v[181:182], v[125:126], -0.5, v[8:9]
	v_add_f64 v[125:126], v[58:59], v[66:67]
	v_add_f64 v[58:59], v[58:59], -v[50:51]
	v_add_f64 v[49:50], v[50:51], v[74:75]
	v_fma_f64 v[8:9], v[47:48], -0.5, v[8:9]
	v_add_f64 v[47:48], v[56:57], v[60:61]
	v_fma_f64 v[73:74], v[69:70], s[20:21], v[205:206]
	v_add_f64 v[65:66], v[94:95], -v[98:99]
	v_add_f64 v[141:142], v[141:142], v[14:15]
	v_add_f64 v[147:148], v[135:136], v[12:13]
	v_fma_f64 v[127:128], v[189:190], s[18:19], v[181:182]
	v_fma_f64 v[183:184], v[125:126], -0.5, v[10:11]
	v_fma_f64 v[10:11], v[49:50], -0.5, v[10:11]
	v_add_f64 v[49:50], v[58:59], v[62:63]
	v_fma_f64 v[53:54], v[191:192], s[20:21], v[8:9]
	v_fma_f64 v[57:58], v[207:208], s[18:19], v[165:166]
	;; [unrolled: 1-line block ×3, first 2 shown]
	v_add_f64 v[59:60], v[35:36], -v[39:40]
	v_fma_f64 v[73:74], v[71:72], s[16:17], v[73:74]
	v_add_f64 v[133:134], v[145:146], v[141:142]
	v_add_f64 v[141:142], v[145:146], -v[141:142]
	v_add_f64 v[145:146], v[45:46], v[86:87]
	v_add_f64 v[135:136], v[147:148], v[143:144]
	v_add_f64 v[143:144], v[147:148], -v[143:144]
	v_add_f64 v[147:148], v[24:25], v[43:44]
	v_fma_f64 v[127:128], v[191:192], s[12:13], v[127:128]
	v_fma_f64 v[125:126], v[185:186], s[20:21], v[183:184]
	;; [unrolled: 1-line block ×7, first 2 shown]
	v_fma_f64 v[215:216], v[145:146], -0.5, v[137:138]
	v_add_f64 v[145:146], v[26:27], v[111:112]
	v_add_f64 v[147:148], v[147:148], v[84:85]
	v_fma_f64 v[127:128], v[177:178], s[14:15], v[127:128]
	v_fma_f64 v[125:126], v[187:188], s[16:17], v[125:126]
	;; [unrolled: 1-line block ×7, first 2 shown]
	v_fma_f64 v[217:218], v[145:146], -0.5, v[137:138]
	v_add_f64 v[145:146], v[28:29], v[105:106]
	v_add_f64 v[147:148], v[147:148], v[109:110]
	;; [unrolled: 1-line block ×3, first 2 shown]
	v_fma_f64 v[125:126], v[179:180], s[14:15], v[125:126]
	v_fma_f64 v[51:52], v[49:50], s[14:15], v[51:52]
	;; [unrolled: 1-line block ×3, first 2 shown]
	v_add_f64 v[49:50], v[35:36], v[39:40]
	v_mul_f64 v[47:48], v[8:9], s[24:25]
	v_fma_f64 v[239:240], v[145:146], -0.5, v[139:140]
	v_add_f64 v[145:146], v[18:19], v[113:114]
	v_add_f64 v[147:148], v[147:148], v[115:116]
	v_mul_f64 v[129:130], v[125:126], s[12:13]
	v_add_f64 v[137:138], v[137:138], v[45:46]
	v_mul_f64 v[55:56], v[51:52], s[18:19]
	v_fma_f64 v[49:50], v[49:50], -0.5, v[78:79]
	v_fma_f64 v[47:48], v[10:11], s[18:19], v[47:48]
	v_mul_f64 v[10:11], v[10:11], s[24:25]
	v_fma_f64 v[231:232], v[145:146], -0.5, v[139:140]
	v_add_f64 v[139:140], v[139:140], v[18:19]
	v_fma_f64 v[129:130], v[127:128], s[22:23], v[129:130]
	v_mul_f64 v[127:128], v[127:128], s[16:17]
	v_fma_f64 v[55:56], v[53:54], s[14:15], v[55:56]
	v_mul_f64 v[53:54], v[53:54], s[20:21]
	v_add_f64 v[145:146], v[102:103], v[20:21]
	v_add_f64 v[137:138], v[137:138], v[86:87]
	v_fma_f64 v[8:9], v[8:9], s[20:21], v[10:11]
	v_fma_f64 v[10:11], v[193:194], s[20:21], v[117:118]
	v_add_f64 v[139:140], v[139:140], v[28:29]
	v_fma_f64 v[131:132], v[125:126], s[22:23], v[127:128]
	v_fma_f64 v[127:128], v[201:202], s[20:21], v[171:172]
	v_fma_f64 v[51:52], v[51:52], s[14:15], v[53:54]
	v_fma_f64 v[53:54], v[199:200], s[20:21], v[163:164]
	v_add_f64 v[145:146], v[145:146], v[30:31]
	v_fma_f64 v[125:126], v[193:194], s[18:19], v[117:118]
	v_add_f64 v[152:153], v[137:138], v[111:112]
	v_fma_f64 v[10:11], v[199:200], s[16:17], v[10:11]
	v_add_f64 v[139:140], v[139:140], v[105:106]
	v_fma_f64 v[127:128], v[207:208], s[16:17], v[127:128]
	v_add_f64 v[161:162], v[57:58], -v[51:52]
	v_fma_f64 v[53:54], v[193:194], s[12:13], v[53:54]
	v_add_f64 v[145:146], v[145:146], v[107:108]
	v_fma_f64 v[125:126], v[199:200], s[12:13], v[125:126]
	v_fma_f64 v[10:11], v[173:174], s[14:15], v[10:11]
	v_add_f64 v[154:155], v[139:140], v[113:114]
	v_fma_f64 v[53:54], v[22:23], s[14:15], v[53:54]
	v_add_f64 v[145:146], v[145:146], v[41:42]
	s_delay_alu instid0(VALU_DEP_3)
	v_add_f64 v[139:140], v[154:155], v[147:148]
	v_add_f64 v[147:148], v[154:155], -v[147:148]
	v_fma_f64 v[154:155], v[175:176], s[14:15], v[127:128]
	v_add_f64 v[159:160], v[53:54], -v[55:56]
	v_add_f64 v[137:138], v[152:153], v[145:146]
	v_add_f64 v[145:146], v[152:153], -v[145:146]
	v_fma_f64 v[152:153], v[173:174], s[14:15], v[125:126]
	v_add_f64 v[127:128], v[154:155], v[131:132]
	v_add_f64 v[131:132], v[154:155], -v[131:132]
	v_add_f64 v[154:155], v[57:58], v[51:52]
	v_fma_f64 v[51:52], v[199:200], s[18:19], v[163:164]
	v_add_f64 v[57:58], v[90:91], -v[16:17]
	v_add_f64 v[125:126], v[152:153], v[129:130]
	v_add_f64 v[129:130], v[152:153], -v[129:130]
	v_add_f64 v[152:153], v[53:54], v[55:56]
	v_add_f64 v[53:54], v[96:97], -v[100:101]
	v_fma_f64 v[51:52], v[193:194], s[16:17], v[51:52]
	s_delay_alu instid0(VALU_DEP_1) | instskip(SKIP_1) | instid1(VALU_DEP_2)
	v_fma_f64 v[22:23], v[22:23], s[14:15], v[51:52]
	v_fma_f64 v[51:52], v[207:208], s[20:21], v[165:166]
	v_add_f64 v[163:164], v[22:23], v[47:48]
	s_delay_alu instid0(VALU_DEP_2) | instskip(SKIP_2) | instid1(VALU_DEP_3)
	v_fma_f64 v[51:52], v[201:202], s[12:13], v[51:52]
	v_add_f64 v[167:168], v[22:23], -v[47:48]
	v_fma_f64 v[22:23], v[201:202], s[18:19], v[171:172]
	v_fma_f64 v[33:34], v[33:34], s[14:15], v[51:52]
	v_add_f64 v[51:52], v[88:89], -v[14:15]
	s_delay_alu instid0(VALU_DEP_3) | instskip(NEXT) | instid1(VALU_DEP_3)
	v_fma_f64 v[22:23], v[207:208], s[12:13], v[22:23]
	v_add_f64 v[165:166], v[33:34], v[8:9]
	v_add_f64 v[169:170], v[33:34], -v[8:9]
	v_fma_f64 v[8:9], v[189:190], s[20:21], v[181:182]
	v_fma_f64 v[33:34], v[185:186], s[18:19], v[183:184]
	;; [unrolled: 1-line block ×4, first 2 shown]
	s_delay_alu instid0(VALU_DEP_4) | instskip(NEXT) | instid1(VALU_DEP_4)
	v_fma_f64 v[8:9], v[191:192], s[16:17], v[8:9]
	v_fma_f64 v[33:34], v[187:188], s[12:13], v[33:34]
	s_delay_alu instid0(VALU_DEP_3) | instskip(NEXT) | instid1(VALU_DEP_3)
	v_fma_f64 v[55:56], v[53:54], s[16:17], v[55:56]
	v_fma_f64 v[8:9], v[177:178], s[14:15], v[8:9]
	s_delay_alu instid0(VALU_DEP_3) | instskip(NEXT) | instid1(VALU_DEP_2)
	v_fma_f64 v[33:34], v[179:180], s[14:15], v[33:34]
	v_mul_f64 v[47:48], v[8:9], s[26:27]
	s_delay_alu instid0(VALU_DEP_1) | instskip(SKIP_1) | instid1(VALU_DEP_2)
	v_fma_f64 v[47:48], v[33:34], s[12:13], v[47:48]
	v_mul_f64 v[33:34], v[33:34], s[26:27]
	v_add_f64 v[171:172], v[10:11], v[47:48]
	s_delay_alu instid0(VALU_DEP_2)
	v_fma_f64 v[8:9], v[8:9], s[16:17], v[33:34]
	v_add_f64 v[175:176], v[10:11], -v[47:48]
	v_add_f64 v[10:11], v[4:5], -v[37:38]
	;; [unrolled: 1-line block ×6, first 2 shown]
	v_add_f64 v[173:174], v[22:23], v[8:9]
	v_add_f64 v[177:178], v[22:23], -v[8:9]
	v_add_f64 v[8:9], v[80:81], -v[92:93]
	v_add_f64 v[22:23], v[12:13], -v[98:99]
	ds_store_b128 v2, v[125:128] offset:48
	ds_store_b128 v2, v[152:155] offset:96
	;; [unrolled: 1-line block ×8, first 2 shown]
	v_and_b32_e32 v2, 0xffff, v3
	v_add_f64 v[8:9], v[8:9], v[10:11]
	v_add_f64 v[10:11], v[82:83], -v[94:95]
	s_delay_alu instid0(VALU_DEP_3) | instskip(NEXT) | instid1(VALU_DEP_2)
	v_mul_u32_u24_e32 v2, 30, v2
	v_add_f64 v[10:11], v[10:11], v[22:23]
	v_add_f64 v[22:23], v[88:89], -v[96:97]
	s_delay_alu instid0(VALU_DEP_2) | instskip(NEXT) | instid1(VALU_DEP_2)
	v_fma_f64 v[73:74], v[10:11], s[14:15], v[73:74]
	v_add_f64 v[22:23], v[22:23], v[33:34]
	v_add_f64 v[33:34], v[90:91], -v[35:36]
	v_add_f64 v[35:36], v[35:36], -v[90:91]
	s_delay_alu instid0(VALU_DEP_2) | instskip(SKIP_1) | instid1(VALU_DEP_2)
	v_add_f64 v[33:34], v[33:34], v[47:48]
	v_add_f64 v[47:48], v[96:97], v[100:101]
	v_fma_f64 v[55:56], v[33:34], s[14:15], v[55:56]
	s_delay_alu instid0(VALU_DEP_2) | instskip(NEXT) | instid1(VALU_DEP_2)
	v_fma_f64 v[47:48], v[47:48], -0.5, v[76:77]
	v_mul_f64 v[63:64], v[55:56], s[12:13]
	s_delay_alu instid0(VALU_DEP_2) | instskip(NEXT) | instid1(VALU_DEP_1)
	v_fma_f64 v[61:62], v[57:58], s[18:19], v[47:48]
	v_fma_f64 v[61:62], v[59:60], s[12:13], v[61:62]
	s_delay_alu instid0(VALU_DEP_1) | instskip(NEXT) | instid1(VALU_DEP_1)
	v_fma_f64 v[61:62], v[22:23], s[14:15], v[61:62]
	v_fma_f64 v[63:64], v[61:62], s[22:23], v[63:64]
	v_mul_f64 v[61:62], v[61:62], s[16:17]
	s_delay_alu instid0(VALU_DEP_1) | instskip(SKIP_2) | instid1(VALU_DEP_3)
	v_fma_f64 v[55:56], v[55:56], s[22:23], v[61:62]
	v_add_f64 v[61:62], v[82:83], -v[12:13]
	v_add_f64 v[12:13], v[98:99], -v[12:13]
	v_add_f64 v[181:182], v[73:74], v[55:56]
	s_delay_alu instid0(VALU_DEP_3)
	v_fma_f64 v[67:68], v[61:62], s[18:19], v[203:204]
	v_add_f64 v[185:186], v[73:74], -v[55:56]
	v_add_f64 v[73:74], v[90:91], v[16:17]
	v_add_f64 v[16:17], v[39:40], -v[16:17]
	v_add_f64 v[55:56], v[92:93], -v[80:81]
	v_add_f64 v[12:13], v[37:38], v[12:13]
	v_fma_f64 v[67:68], v[65:66], s[12:13], v[67:68]
	v_fma_f64 v[39:40], v[73:74], -0.5, v[78:79]
	v_add_f64 v[16:17], v[35:36], v[16:17]
	v_add_f64 v[4:5], v[55:56], v[4:5]
	s_delay_alu instid0(VALU_DEP_4) | instskip(NEXT) | instid1(VALU_DEP_4)
	v_fma_f64 v[67:68], v[8:9], s[14:15], v[67:68]
	v_fma_f64 v[35:36], v[53:54], s[18:19], v[39:40]
	s_delay_alu instid0(VALU_DEP_2)
	v_add_f64 v[179:180], v[67:68], v[63:64]
	v_add_f64 v[183:184], v[67:68], -v[63:64]
	v_add_f64 v[67:68], v[88:89], v[14:15]
	v_add_f64 v[63:64], v[96:97], -v[88:89]
	v_add_f64 v[14:15], v[100:101], -v[14:15]
	v_fma_f64 v[35:36], v[51:52], s[16:17], v[35:36]
	s_delay_alu instid0(VALU_DEP_4) | instskip(SKIP_1) | instid1(VALU_DEP_4)
	v_fma_f64 v[37:38], v[67:68], -0.5, v[76:77]
	v_fma_f64 v[67:68], v[71:72], s[18:19], v[197:198]
	v_add_f64 v[14:15], v[63:64], v[14:15]
	s_delay_alu instid0(VALU_DEP_4) | instskip(NEXT) | instid1(VALU_DEP_4)
	v_fma_f64 v[35:36], v[16:17], s[14:15], v[35:36]
	v_fma_f64 v[55:56], v[59:60], s[20:21], v[37:38]
	s_delay_alu instid0(VALU_DEP_4) | instskip(NEXT) | instid1(VALU_DEP_3)
	v_fma_f64 v[67:68], v[69:70], s[16:17], v[67:68]
	v_mul_f64 v[63:64], v[35:36], s[18:19]
	s_delay_alu instid0(VALU_DEP_3) | instskip(NEXT) | instid1(VALU_DEP_3)
	v_fma_f64 v[55:56], v[57:58], s[12:13], v[55:56]
	v_fma_f64 v[67:68], v[12:13], s[14:15], v[67:68]
	s_delay_alu instid0(VALU_DEP_2) | instskip(NEXT) | instid1(VALU_DEP_1)
	v_fma_f64 v[55:56], v[14:15], s[14:15], v[55:56]
	v_fma_f64 v[63:64], v[55:56], s[14:15], v[63:64]
	v_mul_f64 v[55:56], v[55:56], s[20:21]
	s_delay_alu instid0(VALU_DEP_1) | instskip(SKIP_1) | instid1(VALU_DEP_2)
	v_fma_f64 v[35:36], v[35:36], s[14:15], v[55:56]
	v_fma_f64 v[55:56], v[65:66], s[20:21], v[195:196]
	v_add_f64 v[189:190], v[67:68], v[35:36]
	v_add_f64 v[193:194], v[67:68], -v[35:36]
	v_fma_f64 v[35:36], v[65:66], s[18:19], v[195:196]
	s_delay_alu instid0(VALU_DEP_4) | instskip(NEXT) | instid1(VALU_DEP_2)
	v_fma_f64 v[55:56], v[61:62], s[12:13], v[55:56]
	v_fma_f64 v[35:36], v[61:62], s[16:17], v[35:36]
	s_delay_alu instid0(VALU_DEP_2) | instskip(NEXT) | instid1(VALU_DEP_2)
	v_fma_f64 v[55:56], v[4:5], s[14:15], v[55:56]
	v_fma_f64 v[4:5], v[4:5], s[14:15], v[35:36]
	;; [unrolled: 1-line block ×3, first 2 shown]
	s_delay_alu instid0(VALU_DEP_3) | instskip(SKIP_2) | instid1(VALU_DEP_4)
	v_add_f64 v[187:188], v[55:56], v[63:64]
	v_add_f64 v[191:192], v[55:56], -v[63:64]
	v_add_f64 v[55:56], v[26:27], -v[111:112]
	v_fma_f64 v[35:36], v[69:70], s[12:13], v[35:36]
	s_delay_alu instid0(VALU_DEP_1) | instskip(SKIP_2) | instid1(VALU_DEP_2)
	v_fma_f64 v[12:13], v[12:13], s[14:15], v[35:36]
	v_fma_f64 v[35:36], v[59:60], s[18:19], v[37:38]
	v_add_f64 v[37:38], v[43:44], -v[115:116]
	v_fma_f64 v[35:36], v[57:58], s[16:17], v[35:36]
	s_delay_alu instid0(VALU_DEP_1) | instskip(SKIP_2) | instid1(VALU_DEP_2)
	v_fma_f64 v[14:15], v[14:15], s[14:15], v[35:36]
	v_fma_f64 v[35:36], v[53:54], s[20:21], v[39:40]
	v_add_f64 v[39:40], v[84:85], -v[109:110]
	v_fma_f64 v[35:36], v[51:52], s[12:13], v[35:36]
	s_delay_alu instid0(VALU_DEP_1) | instskip(SKIP_1) | instid1(VALU_DEP_1)
	v_fma_f64 v[16:17], v[16:17], s[14:15], v[35:36]
	v_mul_f64 v[35:36], v[14:15], s[24:25]
	v_fma_f64 v[35:36], v[16:17], s[18:19], v[35:36]
	v_mul_f64 v[16:17], v[16:17], s[24:25]
	s_delay_alu instid0(VALU_DEP_2) | instskip(NEXT) | instid1(VALU_DEP_2)
	v_add_f64 v[195:196], v[4:5], v[35:36]
	v_fma_f64 v[14:15], v[14:15], s[20:21], v[16:17]
	v_add_f64 v[199:200], v[4:5], -v[35:36]
	v_fma_f64 v[4:5], v[57:58], s[20:21], v[47:48]
	v_fma_f64 v[16:17], v[51:52], s[18:19], v[49:50]
	v_add_f64 v[57:58], v[45:46], -v[86:87]
	v_add_f64 v[51:52], v[28:29], -v[105:106]
	v_add_f64 v[197:198], v[12:13], v[14:15]
	v_add_f64 v[201:202], v[12:13], -v[14:15]
	v_fma_f64 v[12:13], v[61:62], s[20:21], v[203:204]
	v_fma_f64 v[14:15], v[69:70], s[18:19], v[205:206]
	;; [unrolled: 1-line block ×8, first 2 shown]
	v_add_f64 v[22:23], v[20:21], -v[41:42]
	v_fma_f64 v[59:60], v[57:58], s[16:17], v[59:60]
	v_fma_f64 v[8:9], v[8:9], s[14:15], v[12:13]
	;; [unrolled: 1-line block ×4, first 2 shown]
	v_mul_f64 v[14:15], v[4:5], s[26:27]
	v_add_f64 v[16:17], v[84:85], v[109:110]
	v_add_f64 v[33:34], v[30:31], -v[107:108]
	s_delay_alu instid0(VALU_DEP_3) | instskip(SKIP_1) | instid1(VALU_DEP_4)
	v_fma_f64 v[14:15], v[12:13], s[12:13], v[14:15]
	v_mul_f64 v[12:13], v[12:13], s[26:27]
	v_fma_f64 v[16:17], v[16:17], -0.5, v[24:25]
	s_delay_alu instid0(VALU_DEP_3) | instskip(NEXT) | instid1(VALU_DEP_3)
	v_add_f64 v[203:204], v[8:9], v[14:15]
	v_fma_f64 v[4:5], v[4:5], s[16:17], v[12:13]
	v_add_f64 v[207:208], v[8:9], -v[14:15]
	v_add_f64 v[8:9], v[111:112], -v[86:87]
	v_add_f64 v[12:13], v[41:42], -v[107:108]
	v_add_f64 v[14:15], v[115:116], -v[109:110]
	v_fma_f64 v[35:36], v[22:23], s[20:21], v[16:17]
	v_fma_f64 v[16:17], v[22:23], s[18:19], v[16:17]
	v_add_f64 v[205:206], v[10:11], v[4:5]
	v_add_f64 v[209:210], v[10:11], -v[4:5]
	v_add_f64 v[4:5], v[26:27], -v[45:46]
	v_add_f64 v[10:11], v[113:114], -v[105:106]
	v_add_f64 v[26:27], v[45:46], -v[26:27]
	v_fma_f64 v[35:36], v[33:34], s[16:17], v[35:36]
	v_add_f64 v[45:46], v[84:85], -v[43:44]
	v_fma_f64 v[16:17], v[33:34], s[12:13], v[16:17]
	v_add_f64 v[4:5], v[4:5], v[8:9]
	v_add_f64 v[8:9], v[18:19], -v[28:29]
	s_delay_alu instid0(VALU_DEP_1) | instskip(SKIP_1) | instid1(VALU_DEP_2)
	v_add_f64 v[8:9], v[8:9], v[10:11]
	v_add_f64 v[10:11], v[20:21], -v[30:31]
	v_fma_f64 v[59:60], v[8:9], s[14:15], v[59:60]
	s_delay_alu instid0(VALU_DEP_2) | instskip(SKIP_2) | instid1(VALU_DEP_2)
	v_add_f64 v[10:11], v[10:11], v[12:13]
	v_add_f64 v[12:13], v[43:44], -v[84:85]
	v_add_f64 v[43:44], v[43:44], v[115:116]
	v_add_f64 v[12:13], v[12:13], v[14:15]
	v_add_f64 v[14:15], v[30:31], v[107:108]
	v_add_f64 v[30:31], v[30:31], -v[20:21]
	v_add_f64 v[20:21], v[20:21], v[41:42]
	v_fma_f64 v[24:25], v[43:44], -0.5, v[24:25]
	v_add_f64 v[41:42], v[107:108], -v[41:42]
	v_fma_f64 v[35:36], v[12:13], s[14:15], v[35:36]
	v_fma_f64 v[14:15], v[14:15], -0.5, v[102:103]
	v_fma_f64 v[12:13], v[12:13], s[14:15], v[16:17]
	v_fma_f64 v[20:21], v[20:21], -0.5, v[102:103]
	s_delay_alu instid0(VALU_DEP_4) | instskip(NEXT) | instid1(VALU_DEP_4)
	v_mul_f64 v[49:50], v[35:36], s[12:13]
	v_fma_f64 v[47:48], v[37:38], s[18:19], v[14:15]
	v_fma_f64 v[14:15], v[37:38], s[20:21], v[14:15]
	s_delay_alu instid0(VALU_DEP_2) | instskip(NEXT) | instid1(VALU_DEP_2)
	v_fma_f64 v[47:48], v[39:40], s[12:13], v[47:48]
	v_fma_f64 v[14:15], v[39:40], s[16:17], v[14:15]
	s_delay_alu instid0(VALU_DEP_2) | instskip(NEXT) | instid1(VALU_DEP_2)
	v_fma_f64 v[47:48], v[10:11], s[14:15], v[47:48]
	v_fma_f64 v[10:11], v[10:11], s[14:15], v[14:15]
	s_delay_alu instid0(VALU_DEP_2) | instskip(SKIP_1) | instid1(VALU_DEP_3)
	v_fma_f64 v[49:50], v[47:48], s[22:23], v[49:50]
	v_mul_f64 v[47:48], v[47:48], s[16:17]
	v_mul_f64 v[14:15], v[10:11], s[26:27]
	s_delay_alu instid0(VALU_DEP_2)
	v_fma_f64 v[35:36], v[35:36], s[22:23], v[47:48]
	v_add_f64 v[47:48], v[18:19], -v[113:114]
	v_add_f64 v[18:19], v[28:29], -v[18:19]
	;; [unrolled: 1-line block ×3, first 2 shown]
	v_fma_f64 v[14:15], v[12:13], s[12:13], v[14:15]
	v_mul_f64 v[12:13], v[12:13], s[26:27]
	v_add_f64 v[213:214], v[59:60], v[35:36]
	v_fma_f64 v[53:54], v[47:48], s[18:19], v[215:216]
	v_add_f64 v[221:222], v[59:60], -v[35:36]
	v_add_f64 v[35:36], v[86:87], -v[111:112]
	v_add_f64 v[18:19], v[18:19], v[28:29]
	v_add_f64 v[28:29], v[30:31], v[41:42]
	v_fma_f64 v[41:42], v[39:40], s[20:21], v[20:21]
	v_fma_f64 v[20:21], v[39:40], s[18:19], v[20:21]
	;; [unrolled: 1-line block ×4, first 2 shown]
	v_add_f64 v[26:27], v[26:27], v[35:36]
	v_fma_f64 v[35:36], v[33:34], s[18:19], v[24:25]
	v_fma_f64 v[24:25], v[33:34], s[20:21], v[24:25]
	;; [unrolled: 1-line block ×9, first 2 shown]
	v_add_f64 v[211:212], v[53:54], v[49:50]
	v_add_f64 v[219:220], v[53:54], -v[49:50]
	v_add_f64 v[49:50], v[109:110], -v[115:116]
	s_delay_alu instid0(VALU_DEP_4) | instskip(NEXT) | instid1(VALU_DEP_2)
	v_mul_f64 v[28:29], v[20:21], s[24:25]
	v_add_f64 v[30:31], v[45:46], v[49:50]
	v_fma_f64 v[45:46], v[57:58], s[18:19], v[231:232]
	s_delay_alu instid0(VALU_DEP_2) | instskip(NEXT) | instid1(VALU_DEP_2)
	v_fma_f64 v[35:36], v[30:31], s[14:15], v[35:36]
	v_fma_f64 v[45:46], v[55:56], s[16:17], v[45:46]
	;; [unrolled: 1-line block ×3, first 2 shown]
	s_delay_alu instid0(VALU_DEP_3) | instskip(NEXT) | instid1(VALU_DEP_3)
	v_mul_f64 v[43:44], v[35:36], s[18:19]
	v_fma_f64 v[45:46], v[18:19], s[14:15], v[45:46]
	s_delay_alu instid0(VALU_DEP_3) | instskip(SKIP_1) | instid1(VALU_DEP_4)
	v_fma_f64 v[28:29], v[24:25], s[18:19], v[28:29]
	v_mul_f64 v[24:25], v[24:25], s[24:25]
	v_fma_f64 v[43:44], v[41:42], s[14:15], v[43:44]
	v_mul_f64 v[41:42], v[41:42], s[20:21]
	s_delay_alu instid0(VALU_DEP_3) | instskip(NEXT) | instid1(VALU_DEP_2)
	v_fma_f64 v[20:21], v[20:21], s[20:21], v[24:25]
	v_fma_f64 v[35:36], v[35:36], s[14:15], v[41:42]
	;; [unrolled: 1-line block ×3, first 2 shown]
	s_delay_alu instid0(VALU_DEP_2) | instskip(SKIP_2) | instid1(VALU_DEP_4)
	v_add_f64 v[225:226], v[45:46], v[35:36]
	v_add_f64 v[229:230], v[45:46], -v[35:36]
	v_fma_f64 v[35:36], v[51:52], s[18:19], v[217:218]
	v_fma_f64 v[41:42], v[47:48], s[12:13], v[41:42]
	s_delay_alu instid0(VALU_DEP_2) | instskip(NEXT) | instid1(VALU_DEP_2)
	v_fma_f64 v[35:36], v[47:48], s[16:17], v[35:36]
	v_fma_f64 v[41:42], v[26:27], s[14:15], v[41:42]
	s_delay_alu instid0(VALU_DEP_2) | instskip(SKIP_1) | instid1(VALU_DEP_3)
	v_fma_f64 v[26:27], v[26:27], s[14:15], v[35:36]
	v_fma_f64 v[35:36], v[57:58], s[20:21], v[231:232]
	v_add_f64 v[223:224], v[41:42], v[43:44]
	v_add_f64 v[227:228], v[41:42], -v[43:44]
	s_delay_alu instid0(VALU_DEP_4) | instskip(NEXT) | instid1(VALU_DEP_4)
	v_add_f64 v[231:232], v[26:27], v[28:29]
	v_fma_f64 v[35:36], v[55:56], s[12:13], v[35:36]
	v_add_f64 v[235:236], v[26:27], -v[28:29]
	s_delay_alu instid0(VALU_DEP_2) | instskip(NEXT) | instid1(VALU_DEP_1)
	v_fma_f64 v[18:19], v[18:19], s[14:15], v[35:36]
	v_add_f64 v[233:234], v[18:19], v[20:21]
	v_add_f64 v[237:238], v[18:19], -v[20:21]
	v_fma_f64 v[18:19], v[47:48], s[20:21], v[215:216]
	v_fma_f64 v[20:21], v[55:56], s[18:19], v[239:240]
	v_add_lshl_u32 v215, v2, v6, 4
	v_mad_u16 v2, v7, 30, v124
	ds_store_b128 v215, v[133:136]
	ds_store_b128 v215, v[179:182] offset:48
	ds_store_b128 v215, v[187:190] offset:96
	;; [unrolled: 1-line block ×9, first 2 shown]
	v_dual_mov_b32 v207, v151 :: v_dual_and_b32 v2, 0xffff, v2
	s_delay_alu instid0(VALU_DEP_1) | instskip(SKIP_2) | instid1(VALU_DEP_2)
	v_lshlrev_b32_e32 v176, 4, v2
	v_fma_f64 v[18:19], v[51:52], s[16:17], v[18:19]
	v_fma_f64 v[20:21], v[57:58], s[12:13], v[20:21]
	v_fma_f64 v[4:5], v[4:5], s[14:15], v[18:19]
	s_delay_alu instid0(VALU_DEP_2) | instskip(NEXT) | instid1(VALU_DEP_2)
	v_fma_f64 v[8:9], v[8:9], s[14:15], v[20:21]
	v_add_f64 v[239:240], v[4:5], v[14:15]
	s_delay_alu instid0(VALU_DEP_2)
	v_add_f64 v[241:242], v[8:9], v[10:11]
	v_add_f64 v[248:249], v[4:5], -v[14:15]
	v_add_f64 v[250:251], v[8:9], -v[10:11]
	v_lshrrev_b16 v8, 12, v0
	ds_store_b128 v176, v[137:140]
	ds_store_b128 v176, v[211:214] offset:48
	ds_store_b128 v176, v[223:226] offset:96
	;; [unrolled: 1-line block ×9, first 2 shown]
	v_mul_lo_u16 v0, v8, 30
	s_waitcnt lgkmcnt(0)
	s_waitcnt_vscnt null, 0x0
	s_barrier
	buffer_gl0_inv
	v_mul_u32_u24_e32 v10, 0x8889, v157
	v_sub_nc_u16 v0, v151, v0
	v_and_b32_e32 v8, 0xffff, v8
	v_mov_b32_e32 v214, v150
	s_delay_alu instid0(VALU_DEP_4) | instskip(NEXT) | instid1(VALU_DEP_4)
	v_lshrrev_b32_e32 v125, 20, v10
	v_and_b32_e32 v9, 0xff, v0
	v_mul_lo_u16 v0, 0x89, v1
	v_mul_u32_u24_e32 v8, 0x12c, v8
	s_delay_alu instid0(VALU_DEP_4) | instskip(NEXT) | instid1(VALU_DEP_4)
	v_mul_lo_u16 v10, v125, 30
	v_mad_u64_u32 v[2:3], null, 0x90, v9, s[10:11]
	s_clause 0x1
	global_load_b128 v[177:180], v[2:3], off offset:432
	global_load_b128 v[232:235], v[2:3], off offset:448
	ds_load_b128 v[130:133], v32 offset:4320
	ds_load_b128 v[134:137], v32 offset:5760
	v_lshrrev_b16 v242, 12, v0
	v_sub_nc_u16 v55, v158, v10
	s_delay_alu instid0(VALU_DEP_2) | instskip(NEXT) | instid1(VALU_DEP_2)
	v_mul_lo_u16 v0, v242, 30
	v_mul_lo_u16 v10, 0x90, v55
	s_delay_alu instid0(VALU_DEP_2) | instskip(NEXT) | instid1(VALU_DEP_2)
	v_sub_nc_u16 v0, v150, v0
	v_and_b32_e32 v10, 0xffff, v10
	s_delay_alu instid0(VALU_DEP_2) | instskip(NEXT) | instid1(VALU_DEP_1)
	v_and_b32_e32 v104, 0xff, v0
	v_mad_u64_u32 v[0:1], null, 0x90, v104, s[10:11]
	s_waitcnt vmcnt(1) lgkmcnt(1)
	v_mul_f64 v[4:5], v[132:133], v[179:180]
	s_delay_alu instid0(VALU_DEP_1) | instskip(SKIP_1) | instid1(VALU_DEP_1)
	v_fma_f64 v[216:217], v[130:131], v[177:178], -v[4:5]
	v_mul_f64 v[4:5], v[130:131], v[179:180]
	v_fma_f64 v[218:219], v[132:133], v[177:178], v[4:5]
	ds_load_b128 v[130:133], v32 offset:8640
	ds_load_b128 v[138:141], v32 offset:7200
	s_clause 0x1
	global_load_b128 v[208:211], v[2:3], off offset:464
	global_load_b128 v[22:25], v[2:3], off offset:480
	s_waitcnt vmcnt(2) lgkmcnt(1)
	v_mul_f64 v[4:5], v[132:133], v[234:235]
	s_delay_alu instid0(VALU_DEP_1) | instskip(SKIP_1) | instid1(VALU_DEP_1)
	v_fma_f64 v[12:13], v[130:131], v[232:233], -v[4:5]
	v_mul_f64 v[4:5], v[130:131], v[234:235]
	v_fma_f64 v[14:15], v[132:133], v[232:233], v[4:5]
	s_waitcnt vmcnt(0)
	scratch_store_b128 off, v[22:25], off offset:1280 ; 16-byte Folded Spill
	ds_load_b128 v[130:133], v32 offset:12960
	ds_load_b128 v[142:145], v32 offset:14400
	s_waitcnt lgkmcnt(1)
	v_mul_f64 v[4:5], v[132:133], v[210:211]
	s_delay_alu instid0(VALU_DEP_1) | instskip(SKIP_1) | instid1(VALU_DEP_1)
	v_fma_f64 v[16:17], v[130:131], v[208:209], -v[4:5]
	v_mul_f64 v[4:5], v[130:131], v[210:211]
	v_fma_f64 v[18:19], v[132:133], v[208:209], v[4:5]
	ds_load_b128 v[130:133], v32 offset:17280
	ds_load_b128 v[146:149], v32 offset:15840
	s_clause 0x1
	global_load_b128 v[236:239], v[2:3], off offset:496
	global_load_b128 v[33:36], v[2:3], off offset:512
	s_waitcnt lgkmcnt(1)
	v_mul_f64 v[4:5], v[132:133], v[24:25]
	s_delay_alu instid0(VALU_DEP_1) | instskip(SKIP_1) | instid1(VALU_DEP_1)
	v_fma_f64 v[20:21], v[130:131], v[22:23], -v[4:5]
	v_mul_f64 v[4:5], v[130:131], v[24:25]
	v_fma_f64 v[22:23], v[132:133], v[22:23], v[4:5]
	s_waitcnt vmcnt(0)
	scratch_store_b128 off, v[33:36], off offset:1104 ; 16-byte Folded Spill
	ds_load_b128 v[130:133], v32 offset:21600
	ds_load_b128 v[153:156], v32 offset:23040
	s_waitcnt lgkmcnt(1)
	v_mul_f64 v[4:5], v[132:133], v[238:239]
	s_delay_alu instid0(VALU_DEP_1) | instskip(SKIP_1) | instid1(VALU_DEP_1)
	v_fma_f64 v[24:25], v[130:131], v[236:237], -v[4:5]
	v_mul_f64 v[4:5], v[130:131], v[238:239]
	v_fma_f64 v[26:27], v[132:133], v[236:237], v[4:5]
	ds_load_b128 v[130:133], v32 offset:25920
	ds_load_b128 v[172:175], v32 offset:24480
	global_load_b128 v[41:44], v[2:3], off offset:544
	s_waitcnt lgkmcnt(1)
	v_mul_f64 v[4:5], v[132:133], v[35:36]
	s_delay_alu instid0(VALU_DEP_1)
	v_fma_f64 v[28:29], v[130:131], v[33:34], -v[4:5]
	v_mul_f64 v[4:5], v[130:131], v[35:36]
	global_load_b128 v[35:38], v[2:3], off offset:528
	v_fma_f64 v[30:31], v[132:133], v[33:34], v[4:5]
	s_waitcnt vmcnt(1)
	scratch_store_b128 off, v[41:44], off offset:1088 ; 16-byte Folded Spill
	s_waitcnt vmcnt(0)
	scratch_store_b128 off, v[35:38], off offset:1152 ; 16-byte Folded Spill
	ds_load_b128 v[130:133], v32 offset:30240
	ds_load_b128 v[164:167], v32 offset:31680
	s_waitcnt lgkmcnt(1)
	v_mul_f64 v[4:5], v[132:133], v[37:38]
	s_delay_alu instid0(VALU_DEP_1) | instskip(SKIP_1) | instid1(VALU_DEP_1)
	v_fma_f64 v[33:34], v[130:131], v[35:36], -v[4:5]
	v_mul_f64 v[4:5], v[130:131], v[37:38]
	v_fma_f64 v[35:36], v[132:133], v[35:36], v[4:5]
	ds_load_b128 v[130:133], v32 offset:34560
	ds_load_b128 v[248:251], v32 offset:33120
	s_waitcnt lgkmcnt(1)
	v_mul_f64 v[4:5], v[132:133], v[43:44]
	v_add_f64 v[70:71], v[26:27], -v[35:36]
	s_delay_alu instid0(VALU_DEP_2)
	v_fma_f64 v[37:38], v[130:131], v[41:42], -v[4:5]
	v_mul_f64 v[4:5], v[130:131], v[43:44]
	global_load_b128 v[43:46], v[2:3], off offset:560
	v_fma_f64 v[39:40], v[132:133], v[41:42], v[4:5]
	global_load_b128 v[4:7], v[0:1], off offset:432
	s_waitcnt vmcnt(1)
	scratch_store_b128 off, v[43:46], off offset:1120 ; 16-byte Folded Spill
	ds_load_b128 v[130:133], v32 offset:38880
	ds_load_b128 v[168:171], v32 offset:40320
	global_load_b128 v[51:54], v[0:1], off offset:448
	s_waitcnt lgkmcnt(1)
	v_mul_f64 v[2:3], v[132:133], v[45:46]
	s_waitcnt vmcnt(1)
	scratch_store_b128 off, v[4:7], off offset:1136 ; 16-byte Folded Spill
	v_fma_f64 v[41:42], v[130:131], v[43:44], -v[2:3]
	v_mul_f64 v[2:3], v[130:131], v[45:46]
	s_delay_alu instid0(VALU_DEP_1) | instskip(SKIP_1) | instid1(VALU_DEP_1)
	v_fma_f64 v[43:44], v[132:133], v[43:44], v[2:3]
	v_mul_f64 v[2:3], v[136:137], v[6:7]
	v_fma_f64 v[45:46], v[134:135], v[4:5], -v[2:3]
	v_mul_f64 v[2:3], v[134:135], v[6:7]
	s_delay_alu instid0(VALU_DEP_1)
	v_fma_f64 v[47:48], v[136:137], v[4:5], v[2:3]
	global_load_b128 v[4:7], v[0:1], off offset:464
	s_waitcnt vmcnt(1)
	scratch_store_b128 off, v[51:54], off offset:1168 ; 16-byte Folded Spill
	ds_load_b128 v[130:133], v32 offset:10080
	ds_load_b128 v[134:137], v32 offset:11520
	global_load_b128 v[60:63], v[0:1], off offset:480
	s_waitcnt lgkmcnt(1)
	v_mul_f64 v[2:3], v[132:133], v[53:54]
	s_delay_alu instid0(VALU_DEP_1) | instskip(SKIP_1) | instid1(VALU_DEP_1)
	v_fma_f64 v[49:50], v[130:131], v[51:52], -v[2:3]
	v_mul_f64 v[2:3], v[130:131], v[53:54]
	v_fma_f64 v[51:52], v[132:133], v[51:52], v[2:3]
	s_waitcnt vmcnt(1)
	v_mul_f64 v[2:3], v[144:145], v[6:7]
	scratch_store_b128 off, v[4:7], off offset:1184 ; 16-byte Folded Spill
	v_fma_f64 v[56:57], v[142:143], v[4:5], -v[2:3]
	v_mul_f64 v[2:3], v[142:143], v[6:7]
	s_delay_alu instid0(VALU_DEP_2) | instskip(NEXT) | instid1(VALU_DEP_2)
	v_add_f64 v[80:81], v[45:46], v[56:57]
	v_fma_f64 v[58:59], v[144:145], v[4:5], v[2:3]
	global_load_b128 v[4:7], v[0:1], off offset:496
	v_mov_b32_e32 v144, v158
	v_add_f64 v[82:83], v[47:48], v[58:59]
	s_waitcnt vmcnt(1)
	scratch_store_b128 off, v[60:63], off offset:1200 ; 16-byte Folded Spill
	ds_load_b128 v[130:133], v32 offset:18720
	ds_load_b128 v[252:255], v32 offset:20160
	global_load_b128 v[64:67], v[0:1], off offset:512
	s_waitcnt lgkmcnt(1)
	v_mul_f64 v[2:3], v[132:133], v[62:63]
	s_delay_alu instid0(VALU_DEP_1) | instskip(SKIP_1) | instid1(VALU_DEP_1)
	v_fma_f64 v[100:101], v[130:131], v[60:61], -v[2:3]
	v_mul_f64 v[2:3], v[130:131], v[62:63]
	v_fma_f64 v[102:103], v[132:133], v[60:61], v[2:3]
	global_load_b128 v[60:63], v[0:1], off offset:528
	s_waitcnt vmcnt(2)
	v_mul_f64 v[2:3], v[155:156], v[6:7]
	scratch_store_b128 off, v[4:7], off offset:1232 ; 16-byte Folded Spill
	v_fma_f64 v[105:106], v[153:154], v[4:5], -v[2:3]
	v_mul_f64 v[2:3], v[153:154], v[6:7]
	v_add_lshl_u32 v153, v8, v9, 4
	s_waitcnt vmcnt(1)
	scratch_store_b128 off, v[64:67], off offset:1264 ; 16-byte Folded Spill
	v_add_f64 v[80:81], v[80:81], v[105:106]
	v_fma_f64 v[107:108], v[155:156], v[4:5], v[2:3]
	ds_load_b128 v[130:133], v32 offset:27360
	ds_load_b128 v[4:7], v32 offset:28800
	s_waitcnt lgkmcnt(1)
	v_mul_f64 v[2:3], v[132:133], v[66:67]
	v_add_f64 v[82:83], v[82:83], v[107:108]
	s_delay_alu instid0(VALU_DEP_2)
	v_fma_f64 v[109:110], v[130:131], v[64:65], -v[2:3]
	v_mul_f64 v[2:3], v[130:131], v[66:67]
	global_load_b128 v[66:69], v[0:1], off offset:544
	s_waitcnt vmcnt(1)
	scratch_store_b128 off, v[60:63], off offset:1296 ; 16-byte Folded Spill
	v_fma_f64 v[111:112], v[132:133], v[64:65], v[2:3]
	v_mul_f64 v[2:3], v[166:167], v[62:63]
	s_delay_alu instid0(VALU_DEP_1) | instskip(SKIP_4) | instid1(VALU_DEP_1)
	v_fma_f64 v[113:114], v[164:165], v[60:61], -v[2:3]
	v_mul_f64 v[2:3], v[164:165], v[62:63]
	global_load_b128 v[62:65], v[0:1], off offset:560
	v_add_f64 v[80:81], v[80:81], v[113:114]
	v_fma_f64 v[115:116], v[166:167], v[60:61], v[2:3]
	v_add_f64 v[82:83], v[82:83], v[115:116]
	s_waitcnt vmcnt(1)
	scratch_store_b128 off, v[66:69], off offset:1216 ; 16-byte Folded Spill
	ds_load_b128 v[130:133], v32 offset:36000
	ds_load_b128 v[0:3], v32 offset:37440
	s_waitcnt lgkmcnt(1)
	v_mul_f64 v[60:61], v[132:133], v[68:69]
	s_delay_alu instid0(VALU_DEP_1)
	v_fma_f64 v[117:118], v[130:131], v[66:67], -v[60:61]
	v_mul_f64 v[60:61], v[130:131], v[68:69]
	s_waitcnt vmcnt(0)
	scratch_store_b128 off, v[62:65], off offset:1248 ; 16-byte Folded Spill
	v_fma_f64 v[126:127], v[132:133], v[66:67], v[60:61]
	v_mul_f64 v[60:61], v[170:171], v[64:65]
	v_add_f64 v[66:67], v[24:25], -v[33:34]
	s_delay_alu instid0(VALU_DEP_2) | instskip(SKIP_3) | instid1(VALU_DEP_4)
	v_fma_f64 v[128:129], v[168:169], v[62:63], -v[60:61]
	v_mul_f64 v[60:61], v[168:169], v[64:65]
	v_add_f64 v[64:65], v[16:17], -v[41:42]
	v_add_f64 v[168:169], v[22:23], -v[30:31]
	v_add_f64 v[80:81], v[80:81], v[128:129]
	s_delay_alu instid0(VALU_DEP_4) | instskip(SKIP_1) | instid1(VALU_DEP_1)
	v_fma_f64 v[130:131], v[170:171], v[62:63], v[60:61]
	v_add_co_u32 v60, s28, s10, v10
	v_add_co_ci_u32_e64 v61, null, s11, 0, s28
	s_clause 0x8
	global_load_b128 v[203:206], v[60:61], off offset:432
	global_load_b128 v[224:227], v[60:61], off offset:448
	;; [unrolled: 1-line block ×9, first 2 shown]
	v_add_f64 v[82:83], v[82:83], v[130:131]
	s_waitcnt vmcnt(8)
	v_mul_f64 v[62:63], v[140:141], v[205:206]
	s_delay_alu instid0(VALU_DEP_1) | instskip(SKIP_1) | instid1(VALU_DEP_1)
	v_fma_f64 v[193:194], v[138:139], v[203:204], -v[62:63]
	v_mul_f64 v[62:63], v[138:139], v[205:206]
	v_fma_f64 v[158:159], v[140:141], v[203:204], v[62:63]
	s_waitcnt vmcnt(7)
	v_mul_f64 v[62:63], v[136:137], v[226:227]
	s_delay_alu instid0(VALU_DEP_1) | instskip(SKIP_1) | instid1(VALU_DEP_1)
	v_fma_f64 v[154:155], v[134:135], v[224:225], -v[62:63]
	v_mul_f64 v[62:63], v[134:135], v[226:227]
	v_fma_f64 v[134:135], v[136:137], v[224:225], v[62:63]
	;; [unrolled: 6-line block ×5, first 2 shown]
	s_waitcnt vmcnt(3)
	v_mul_f64 v[62:63], v[6:7], v[201:202]
	v_add_f64 v[174:175], v[20:21], -v[28:29]
	s_delay_alu instid0(VALU_DEP_2) | instskip(SKIP_2) | instid1(VALU_DEP_2)
	v_fma_f64 v[123:124], v[4:5], v[199:200], -v[62:63]
	v_mul_f64 v[4:5], v[4:5], v[201:202]
	v_add_f64 v[62:63], v[18:19], -v[43:44]
	v_fma_f64 v[86:87], v[6:7], v[199:200], v[4:5]
	s_waitcnt vmcnt(2)
	v_mul_f64 v[4:5], v[250:251], v[183:184]
	s_delay_alu instid0(VALU_DEP_1) | instskip(SKIP_1) | instid1(VALU_DEP_1)
	v_fma_f64 v[240:241], v[248:249], v[181:182], -v[4:5]
	v_mul_f64 v[4:5], v[248:249], v[183:184]
	v_fma_f64 v[84:85], v[250:251], v[181:182], v[4:5]
	s_waitcnt vmcnt(1) lgkmcnt(0)
	v_mul_f64 v[4:5], v[2:3], v[191:192]
	s_delay_alu instid0(VALU_DEP_1) | instskip(SKIP_1) | instid1(VALU_DEP_1)
	v_fma_f64 v[72:73], v[0:1], v[189:190], -v[4:5]
	v_mul_f64 v[0:1], v[0:1], v[191:192]
	v_fma_f64 v[74:75], v[2:3], v[189:190], v[0:1]
	ds_load_b128 v[0:3], v32 offset:41760
	ds_load_b128 v[4:7], v32
	ds_load_b128 v[248:251], v32 offset:1440
	ds_load_b128 v[252:255], v32 offset:2880
	s_waitcnt vmcnt(0) lgkmcnt(0)
	s_waitcnt_vscnt null, 0x0
	s_barrier
	buffer_gl0_inv
	v_mul_f64 v[60:61], v[2:3], v[230:231]
	s_delay_alu instid0(VALU_DEP_1) | instskip(SKIP_1) | instid1(VALU_DEP_1)
	v_fma_f64 v[90:91], v[0:1], v[228:229], -v[60:61]
	v_mul_f64 v[0:1], v[0:1], v[230:231]
	v_fma_f64 v[53:54], v[2:3], v[228:229], v[0:1]
	v_add_f64 v[0:1], v[20:21], v[28:29]
	v_add_f64 v[2:3], v[6:7], v[14:15]
	s_delay_alu instid0(VALU_DEP_2) | instskip(SKIP_1) | instid1(VALU_DEP_3)
	v_fma_f64 v[60:61], v[0:1], -0.5, v[4:5]
	v_add_f64 v[0:1], v[12:13], v[37:38]
	v_add_f64 v[2:3], v[2:3], v[22:23]
	s_delay_alu instid0(VALU_DEP_2) | instskip(SKIP_1) | instid1(VALU_DEP_3)
	v_fma_f64 v[244:245], v[0:1], -0.5, v[4:5]
	;; [unrolled: 4-line block ×3, first 2 shown]
	v_add_f64 v[0:1], v[14:15], v[39:40]
	v_add_f64 v[78:79], v[2:3], v[39:40]
	s_delay_alu instid0(VALU_DEP_2) | instskip(SKIP_3) | instid1(VALU_DEP_3)
	v_fma_f64 v[246:247], v[0:1], -0.5, v[6:7]
	v_add_f64 v[0:1], v[4:5], v[12:13]
	v_add_f64 v[4:5], v[216:217], v[16:17]
	;; [unrolled: 1-line block ×4, first 2 shown]
	s_delay_alu instid0(VALU_DEP_3) | instskip(NEXT) | instid1(VALU_DEP_3)
	v_add_f64 v[4:5], v[4:5], v[24:25]
	v_add_f64 v[6:7], v[6:7], v[26:27]
	s_delay_alu instid0(VALU_DEP_3) | instskip(NEXT) | instid1(VALU_DEP_3)
	v_add_f64 v[0:1], v[0:1], v[28:29]
	v_add_f64 v[4:5], v[4:5], v[33:34]
	s_delay_alu instid0(VALU_DEP_3) | instskip(NEXT) | instid1(VALU_DEP_3)
	v_add_f64 v[6:7], v[6:7], v[35:36]
	v_add_f64 v[76:77], v[0:1], v[37:38]
	s_delay_alu instid0(VALU_DEP_3) | instskip(NEXT) | instid1(VALU_DEP_3)
	v_add_f64 v[4:5], v[4:5], v[41:42]
	v_add_f64 v[6:7], v[6:7], v[43:44]
	s_delay_alu instid0(VALU_DEP_2) | instskip(SKIP_2) | instid1(VALU_DEP_4)
	v_add_f64 v[0:1], v[76:77], v[4:5]
	v_add_f64 v[4:5], v[76:77], -v[4:5]
	v_add_f64 v[76:77], v[100:101], v[109:110]
	v_add_f64 v[2:3], v[78:79], v[6:7]
	v_add_f64 v[6:7], v[78:79], -v[6:7]
	v_add_f64 v[78:79], v[250:251], v[51:52]
	ds_store_b128 v153, v[0:3]
	ds_store_b128 v153, v[4:7] offset:2400
	v_fma_f64 v[142:143], v[76:77], -0.5, v[248:249]
	v_add_f64 v[76:77], v[49:50], v[117:118]
	v_add_f64 v[0:1], v[12:13], -v[20:21]
	v_add_f64 v[2:3], v[37:38], -v[28:29]
	v_add_f64 v[78:79], v[78:79], v[102:103]
	v_add_f64 v[4:5], v[39:40], -v[30:31]
	v_add_f64 v[6:7], v[41:42], -v[33:34]
	v_fma_f64 v[132:133], v[76:77], -0.5, v[248:249]
	v_add_f64 v[76:77], v[102:103], v[111:112]
	v_add_f64 v[10:11], v[0:1], v[2:3]
	v_add_f64 v[2:3], v[14:15], -v[22:23]
	v_add_f64 v[78:79], v[78:79], v[111:112]
	v_add_f64 v[0:1], v[12:13], -v[37:38]
	v_add_f64 v[12:13], v[20:21], -v[12:13]
	v_add_f64 v[20:21], v[28:29], -v[37:38]
	v_add_f64 v[28:29], v[33:34], -v[41:42]
	v_add_f64 v[37:38], v[105:106], -v[56:57]
	v_fma_f64 v[138:139], v[76:77], -0.5, v[250:251]
	v_add_f64 v[76:77], v[51:52], v[126:127]
	v_add_f64 v[8:9], v[2:3], v[4:5]
	v_add_f64 v[4:5], v[16:17], -v[24:25]
	v_add_f64 v[78:79], v[78:79], v[126:127]
	v_add_f64 v[2:3], v[14:15], -v[39:40]
	v_add_f64 v[14:15], v[22:23], -v[14:15]
	;; [unrolled: 1-line block ×4, first 2 shown]
	v_add_f64 v[12:13], v[12:13], v[20:21]
	v_add_f64 v[39:40], v[56:57], v[128:129]
	v_fma_f64 v[88:89], v[76:77], -0.5, v[250:251]
	v_add_f64 v[76:77], v[248:249], v[49:50]
	v_add_f64 v[4:5], v[4:5], v[6:7]
	v_add_f64 v[6:7], v[18:19], -v[26:27]
	v_add_f64 v[250:251], v[78:79], v[82:83]
	v_add_f64 v[166:167], v[78:79], -v[82:83]
	v_add_f64 v[78:79], v[254:255], v[134:135]
	v_add_f64 v[82:83], v[158:159], v[145:146]
	;; [unrolled: 1-line block ×4, first 2 shown]
	s_delay_alu instid0(VALU_DEP_4) | instskip(NEXT) | instid1(VALU_DEP_4)
	v_add_f64 v[78:79], v[78:79], v[156:157]
	v_add_f64 v[82:83], v[82:83], v[162:163]
	s_delay_alu instid0(VALU_DEP_3) | instskip(NEXT) | instid1(VALU_DEP_3)
	v_add_f64 v[76:77], v[76:77], v[109:110]
	v_add_f64 v[78:79], v[78:79], v[86:87]
	s_delay_alu instid0(VALU_DEP_3) | instskip(NEXT) | instid1(VALU_DEP_3)
	;; [unrolled: 3-line block ×3, first 2 shown]
	v_add_f64 v[78:79], v[78:79], v[74:75]
	v_add_f64 v[82:83], v[82:83], v[53:54]
	s_delay_alu instid0(VALU_DEP_3) | instskip(SKIP_4) | instid1(VALU_DEP_3)
	v_add_f64 v[248:249], v[76:77], v[80:81]
	v_add_f64 v[164:165], v[76:77], -v[80:81]
	v_add_f64 v[76:77], v[147:148], v[123:124]
	v_add_f64 v[80:81], v[193:194], v[136:137]
	v_add_f64 v[151:152], v[78:79], -v[82:83]
	v_fma_f64 v[140:141], v[76:77], -0.5, v[252:253]
	v_add_f64 v[76:77], v[154:155], v[72:73]
	s_delay_alu instid0(VALU_DEP_4) | instskip(NEXT) | instid1(VALU_DEP_2)
	v_add_f64 v[80:81], v[80:81], v[160:161]
	v_fma_f64 v[212:213], v[76:77], -0.5, v[252:253]
	v_add_f64 v[76:77], v[156:157], v[86:87]
	s_delay_alu instid0(VALU_DEP_3) | instskip(NEXT) | instid1(VALU_DEP_2)
	v_add_f64 v[80:81], v[80:81], v[240:241]
	v_fma_f64 v[172:173], v[76:77], -0.5, v[254:255]
	v_add_f64 v[76:77], v[134:135], v[74:75]
	s_delay_alu instid0(VALU_DEP_3) | instskip(NEXT) | instid1(VALU_DEP_2)
	v_add_f64 v[80:81], v[80:81], v[90:91]
	v_fma_f64 v[170:171], v[76:77], -0.5, v[254:255]
	v_add_f64 v[76:77], v[252:253], v[154:155]
	v_add_f64 v[254:255], v[78:79], v[82:83]
	v_fma_f64 v[82:83], v[0:1], s[20:21], v[68:69]
	s_delay_alu instid0(VALU_DEP_3) | instskip(NEXT) | instid1(VALU_DEP_2)
	v_add_f64 v[76:77], v[76:77], v[147:148]
	v_fma_f64 v[82:83], v[174:175], s[16:17], v[82:83]
	s_delay_alu instid0(VALU_DEP_2) | instskip(NEXT) | instid1(VALU_DEP_2)
	v_add_f64 v[76:77], v[76:77], v[123:124]
	v_fma_f64 v[82:83], v[8:9], s[14:15], v[82:83]
	s_delay_alu instid0(VALU_DEP_2) | instskip(NEXT) | instid1(VALU_DEP_1)
	v_add_f64 v[76:77], v[76:77], v[72:73]
	v_add_f64 v[252:253], v[76:77], v[80:81]
	v_add_f64 v[149:150], v[76:77], -v[80:81]
	v_add_f64 v[76:77], v[43:44], -v[35:36]
	s_delay_alu instid0(VALU_DEP_1)
	v_add_f64 v[6:7], v[6:7], v[76:77]
	v_add_f64 v[76:77], v[24:25], v[33:34]
	v_add_f64 v[24:25], v[24:25], -v[16:17]
	v_add_f64 v[16:17], v[16:17], v[41:42]
	v_add_f64 v[33:34], v[100:101], -v[109:110]
	v_add_f64 v[41:42], v[113:114], -v[128:129]
	v_fma_f64 v[92:93], v[76:77], -0.5, v[216:217]
	v_add_f64 v[76:77], v[26:27], v[35:36]
	v_add_f64 v[26:27], v[26:27], -v[18:19]
	v_add_f64 v[18:19], v[18:19], v[43:44]
	v_fma_f64 v[16:17], v[16:17], -0.5, v[216:217]
	v_add_f64 v[20:21], v[24:25], v[28:29]
	v_add_f64 v[43:44], v[107:108], -v[58:59]
	v_fma_f64 v[78:79], v[62:63], s[18:19], v[92:93]
	v_fma_f64 v[94:95], v[76:77], -0.5, v[218:219]
	v_add_f64 v[22:23], v[26:27], v[30:31]
	v_fma_f64 v[18:19], v[18:19], -0.5, v[218:219]
	v_fma_f64 v[26:27], v[70:71], s[20:21], v[16:17]
	v_fma_f64 v[30:31], v[174:175], s[18:19], v[246:247]
	;; [unrolled: 1-line block ×19, first 2 shown]
	s_delay_alu instid0(VALU_DEP_4) | instskip(NEXT) | instid1(VALU_DEP_4)
	v_mul_f64 v[20:21], v[16:17], s[24:25]
	v_fma_f64 v[18:19], v[22:23], s[14:15], v[18:19]
	s_delay_alu instid0(VALU_DEP_4) | instskip(NEXT) | instid1(VALU_DEP_4)
	v_mul_f64 v[80:81], v[76:77], s[12:13]
	v_mul_f64 v[28:29], v[24:25], s[18:19]
	s_delay_alu instid0(VALU_DEP_3) | instskip(SKIP_1) | instid1(VALU_DEP_4)
	v_fma_f64 v[20:21], v[18:19], s[18:19], v[20:21]
	v_mul_f64 v[18:19], v[18:19], s[24:25]
	v_fma_f64 v[80:81], v[78:79], s[22:23], v[80:81]
	v_mul_f64 v[78:79], v[78:79], s[16:17]
	;; [unrolled: 2-line block ×3, first 2 shown]
	v_fma_f64 v[16:17], v[16:17], s[20:21], v[18:19]
	v_add_f64 v[18:19], v[58:59], -v[130:131]
	v_fma_f64 v[76:77], v[76:77], s[22:23], v[78:79]
	v_fma_f64 v[78:79], v[2:3], s[18:19], v[60:61]
	;; [unrolled: 1-line block ×4, first 2 shown]
	s_delay_alu instid0(VALU_DEP_4) | instskip(NEXT) | instid1(VALU_DEP_4)
	v_add_f64 v[121:122], v[82:83], v[76:77]
	v_fma_f64 v[78:79], v[168:169], s[12:13], v[78:79]
	v_add_f64 v[98:99], v[82:83], -v[76:77]
	v_add_f64 v[82:83], v[30:31], -v[24:25]
	v_fma_f64 v[26:27], v[2:3], s[12:13], v[26:27]
	s_delay_alu instid0(VALU_DEP_4) | instskip(NEXT) | instid1(VALU_DEP_2)
	v_fma_f64 v[78:79], v[10:11], s[14:15], v[78:79]
	v_fma_f64 v[26:27], v[12:13], s[14:15], v[26:27]
	s_delay_alu instid0(VALU_DEP_2)
	v_add_f64 v[119:120], v[78:79], v[80:81]
	v_add_f64 v[96:97], v[78:79], -v[80:81]
	v_add_f64 v[78:79], v[30:31], v[24:25]
	v_fma_f64 v[24:25], v[168:169], s[18:19], v[244:245]
	v_add_f64 v[30:31], v[49:50], -v[117:118]
	v_add_f64 v[76:77], v[26:27], v[28:29]
	v_add_f64 v[80:81], v[26:27], -v[28:29]
	v_add_f64 v[26:27], v[102:103], -v[111:112]
	v_fma_f64 v[24:25], v[2:3], s[16:17], v[24:25]
	v_fma_f64 v[2:3], v[2:3], s[20:21], v[60:61]
	v_fma_f64 v[35:36], v[30:31], s[20:21], v[138:139]
	s_delay_alu instid0(VALU_DEP_3) | instskip(SKIP_1) | instid1(VALU_DEP_4)
	v_fma_f64 v[12:13], v[12:13], s[14:15], v[24:25]
	v_fma_f64 v[24:25], v[174:175], s[20:21], v[246:247]
	;; [unrolled: 1-line block ×3, first 2 shown]
	s_delay_alu instid0(VALU_DEP_4) | instskip(NEXT) | instid1(VALU_DEP_4)
	v_fma_f64 v[35:36], v[33:34], s[16:17], v[35:36]
	v_add_f64 v[244:245], v[12:13], v[20:21]
	s_delay_alu instid0(VALU_DEP_4)
	v_fma_f64 v[24:25], v[0:1], s[12:13], v[24:25]
	v_add_f64 v[216:217], v[12:13], -v[20:21]
	v_fma_f64 v[12:13], v[62:63], s[20:21], v[92:93]
	v_fma_f64 v[0:1], v[0:1], s[18:19], v[68:69]
	;; [unrolled: 1-line block ×3, first 2 shown]
	v_add_f64 v[10:11], v[107:108], v[115:116]
	v_add_f64 v[20:21], v[107:108], -v[115:116]
	v_fma_f64 v[14:15], v[14:15], s[14:15], v[24:25]
	v_fma_f64 v[12:13], v[70:71], s[16:17], v[12:13]
	;; [unrolled: 1-line block ×3, first 2 shown]
	v_fma_f64 v[10:11], v[10:11], -0.5, v[47:48]
	s_delay_alu instid0(VALU_DEP_4)
	v_add_f64 v[246:247], v[14:15], v[16:17]
	v_add_f64 v[218:219], v[14:15], -v[16:17]
	v_fma_f64 v[14:15], v[64:65], s[18:19], v[94:95]
	v_fma_f64 v[4:5], v[4:5], s[14:15], v[12:13]
	;; [unrolled: 1-line block ×3, first 2 shown]
	v_add_f64 v[12:13], v[56:57], -v[128:129]
	s_delay_alu instid0(VALU_DEP_4) | instskip(NEXT) | instid1(VALU_DEP_4)
	v_fma_f64 v[14:15], v[66:67], s[12:13], v[14:15]
	v_mul_f64 v[8:9], v[4:5], s[26:27]
	s_delay_alu instid0(VALU_DEP_3) | instskip(SKIP_1) | instid1(VALU_DEP_4)
	v_fma_f64 v[16:17], v[12:13], s[20:21], v[10:11]
	v_fma_f64 v[10:11], v[12:13], s[18:19], v[10:11]
	;; [unrolled: 1-line block ×3, first 2 shown]
	v_add_f64 v[14:15], v[105:106], -v[113:114]
	s_delay_alu instid0(VALU_DEP_2) | instskip(SKIP_1) | instid1(VALU_DEP_3)
	v_fma_f64 v[8:9], v[6:7], s[12:13], v[8:9]
	v_mul_f64 v[6:7], v[6:7], s[26:27]
	v_fma_f64 v[16:17], v[14:15], s[16:17], v[16:17]
	v_fma_f64 v[10:11], v[14:15], s[12:13], v[10:11]
	s_delay_alu instid0(VALU_DEP_4) | instskip(NEXT) | instid1(VALU_DEP_4)
	v_add_f64 v[64:65], v[2:3], v[8:9]
	v_fma_f64 v[4:5], v[4:5], s[16:17], v[6:7]
	v_add_f64 v[68:69], v[2:3], -v[8:9]
	v_add_f64 v[2:3], v[117:118], -v[109:110]
	;; [unrolled: 1-line block ×4, first 2 shown]
	v_add_f64 v[66:67], v[0:1], v[4:5]
	v_add_f64 v[70:71], v[0:1], -v[4:5]
	v_add_f64 v[0:1], v[49:50], -v[100:101]
	;; [unrolled: 1-line block ×3, first 2 shown]
	ds_store_b128 v153, v[119:122] offset:480
	ds_store_b128 v153, v[76:79] offset:960
	;; [unrolled: 1-line block ×8, first 2 shown]
	v_add_f64 v[0:1], v[0:1], v[2:3]
	v_add_f64 v[2:3], v[51:52], -v[102:103]
	s_delay_alu instid0(VALU_DEP_1) | instskip(SKIP_1) | instid1(VALU_DEP_2)
	v_add_f64 v[2:3], v[2:3], v[4:5]
	v_add_f64 v[4:5], v[56:57], -v[105:106]
	v_fma_f64 v[35:36], v[2:3], s[14:15], v[35:36]
	s_delay_alu instid0(VALU_DEP_2) | instskip(SKIP_2) | instid1(VALU_DEP_2)
	v_add_f64 v[4:5], v[4:5], v[6:7]
	v_add_f64 v[6:7], v[58:59], -v[107:108]
	v_add_f64 v[107:108], v[145:146], -v[53:54]
	v_add_f64 v[6:7], v[6:7], v[8:9]
	v_add_f64 v[8:9], v[105:106], v[113:114]
	v_add_f64 v[105:106], v[160:161], -v[240:241]
	v_add_f64 v[113:114], v[156:157], -v[86:87]
	s_delay_alu instid0(VALU_DEP_4) | instskip(NEXT) | instid1(VALU_DEP_4)
	v_fma_f64 v[16:17], v[6:7], s[14:15], v[16:17]
	v_fma_f64 v[8:9], v[8:9], -0.5, v[45:46]
	v_fma_f64 v[6:7], v[6:7], s[14:15], v[10:11]
	s_delay_alu instid0(VALU_DEP_3) | instskip(NEXT) | instid1(VALU_DEP_3)
	v_mul_f64 v[24:25], v[16:17], s[12:13]
	v_fma_f64 v[22:23], v[18:19], s[18:19], v[8:9]
	v_fma_f64 v[8:9], v[18:19], s[20:21], v[8:9]
	s_delay_alu instid0(VALU_DEP_2) | instskip(NEXT) | instid1(VALU_DEP_2)
	v_fma_f64 v[22:23], v[20:21], s[12:13], v[22:23]
	v_fma_f64 v[8:9], v[20:21], s[16:17], v[8:9]
	s_delay_alu instid0(VALU_DEP_2) | instskip(NEXT) | instid1(VALU_DEP_2)
	v_fma_f64 v[22:23], v[4:5], s[14:15], v[22:23]
	v_fma_f64 v[4:5], v[4:5], s[14:15], v[8:9]
	s_delay_alu instid0(VALU_DEP_2) | instskip(SKIP_1) | instid1(VALU_DEP_3)
	v_fma_f64 v[24:25], v[22:23], s[22:23], v[24:25]
	v_mul_f64 v[22:23], v[22:23], s[16:17]
	v_mul_f64 v[8:9], v[4:5], s[26:27]
	s_delay_alu instid0(VALU_DEP_2) | instskip(SKIP_1) | instid1(VALU_DEP_3)
	v_fma_f64 v[16:17], v[16:17], s[22:23], v[22:23]
	v_add_f64 v[22:23], v[51:52], -v[126:127]
	v_fma_f64 v[8:9], v[6:7], s[12:13], v[8:9]
	v_mul_f64 v[6:7], v[6:7], s[26:27]
	s_delay_alu instid0(VALU_DEP_4) | instskip(NEXT) | instid1(VALU_DEP_4)
	v_add_f64 v[94:95], v[35:36], v[16:17]
	v_fma_f64 v[28:29], v[22:23], s[18:19], v[142:143]
	v_add_f64 v[62:63], v[35:36], -v[16:17]
	v_add_f64 v[16:17], v[100:101], -v[49:50]
	v_add_f64 v[49:50], v[58:59], v[130:131]
	v_add_f64 v[35:36], v[111:112], -v[126:127]
	v_fma_f64 v[4:5], v[4:5], s[16:17], v[6:7]
	v_add_f64 v[6:7], v[90:91], -v[240:241]
	v_add_f64 v[111:112], v[134:135], -v[74:75]
	v_fma_f64 v[28:29], v[26:27], s[12:13], v[28:29]
	v_fma_f64 v[56:57], v[49:50], -0.5, v[47:48]
	s_delay_alu instid0(VALU_DEP_2) | instskip(NEXT) | instid1(VALU_DEP_1)
	v_fma_f64 v[28:29], v[0:1], s[14:15], v[28:29]
	v_add_f64 v[92:93], v[28:29], v[24:25]
	v_add_f64 v[60:61], v[28:29], -v[24:25]
	v_add_f64 v[24:25], v[109:110], -v[117:118]
	;; [unrolled: 1-line block ×8, first 2 shown]
	v_add_f64 v[16:17], v[16:17], v[24:25]
	v_add_f64 v[24:25], v[28:29], v[35:36]
	v_fma_f64 v[28:29], v[39:40], -0.5, v[45:46]
	v_fma_f64 v[39:40], v[14:15], s[18:19], v[56:57]
	v_add_f64 v[35:36], v[37:38], v[41:42]
	v_add_f64 v[37:38], v[43:44], v[51:52]
	v_fma_f64 v[45:46], v[33:34], s[18:19], v[88:89]
	v_fma_f64 v[41:42], v[20:21], s[20:21], v[28:29]
	;; [unrolled: 1-line block ×4, first 2 shown]
	v_add_f64 v[20:21], v[240:241], -v[90:91]
	v_fma_f64 v[45:46], v[30:31], s[16:17], v[45:46]
	v_fma_f64 v[41:42], v[18:19], s[12:13], v[41:42]
	;; [unrolled: 1-line block ×7, first 2 shown]
	v_mul_f64 v[43:44], v[39:40], s[18:19]
	v_fma_f64 v[28:29], v[35:36], s[14:15], v[28:29]
	v_fma_f64 v[35:36], v[14:15], s[20:21], v[56:57]
	;; [unrolled: 1-line block ×3, first 2 shown]
	s_delay_alu instid0(VALU_DEP_4) | instskip(SKIP_1) | instid1(VALU_DEP_4)
	v_fma_f64 v[43:44], v[41:42], s[14:15], v[43:44]
	v_mul_f64 v[41:42], v[41:42], s[20:21]
	v_fma_f64 v[35:36], v[12:13], s[12:13], v[35:36]
	s_delay_alu instid0(VALU_DEP_4) | instskip(NEXT) | instid1(VALU_DEP_3)
	v_fma_f64 v[14:15], v[117:118], s[16:17], v[14:15]
	v_fma_f64 v[39:40], v[39:40], s[14:15], v[41:42]
	;; [unrolled: 1-line block ×3, first 2 shown]
	s_delay_alu instid0(VALU_DEP_4) | instskip(SKIP_1) | instid1(VALU_DEP_4)
	v_fma_f64 v[35:36], v[37:38], s[14:15], v[35:36]
	v_mul_f64 v[37:38], v[28:29], s[24:25]
	v_add_f64 v[47:48], v[51:52], v[39:40]
	s_delay_alu instid0(VALU_DEP_4) | instskip(SKIP_2) | instid1(VALU_DEP_3)
	v_fma_f64 v[41:42], v[22:23], s[12:13], v[41:42]
	v_add_f64 v[51:52], v[51:52], -v[39:40]
	v_fma_f64 v[39:40], v[26:27], s[18:19], v[132:133]
	v_fma_f64 v[41:42], v[16:17], s[14:15], v[41:42]
	s_delay_alu instid0(VALU_DEP_2) | instskip(NEXT) | instid1(VALU_DEP_2)
	v_fma_f64 v[39:40], v[22:23], s[16:17], v[39:40]
	v_add_f64 v[45:46], v[41:42], v[43:44]
	v_add_f64 v[49:50], v[41:42], -v[43:44]
	s_delay_alu instid0(VALU_DEP_3) | instskip(SKIP_3) | instid1(VALU_DEP_3)
	v_fma_f64 v[16:17], v[16:17], s[14:15], v[39:40]
	v_fma_f64 v[41:42], v[35:36], s[18:19], v[37:38]
	v_mul_f64 v[35:36], v[35:36], s[24:25]
	v_fma_f64 v[39:40], v[33:34], s[20:21], v[88:89]
	v_add_f64 v[37:38], v[16:17], v[41:42]
	v_add_f64 v[41:42], v[16:17], -v[41:42]
	v_fma_f64 v[16:17], v[22:23], s[20:21], v[142:143]
	v_fma_f64 v[28:29], v[28:29], s[20:21], v[35:36]
	v_fma_f64 v[39:40], v[30:31], s[12:13], v[39:40]
	v_add_f64 v[22:23], v[162:163], -v[145:146]
	v_mov_b32_e32 v143, v207
	v_fma_f64 v[12:13], v[26:27], s[16:17], v[16:17]
	v_fma_f64 v[16:17], v[33:34], s[12:13], v[18:19]
	;; [unrolled: 1-line block ×3, first 2 shown]
	v_add_f64 v[18:19], v[136:137], v[90:91]
	s_delay_alu instid0(VALU_DEP_4) | instskip(NEXT) | instid1(VALU_DEP_4)
	v_fma_f64 v[0:1], v[0:1], s[14:15], v[12:13]
	v_fma_f64 v[2:3], v[2:3], s[14:15], v[16:17]
	s_delay_alu instid0(VALU_DEP_4)
	v_add_f64 v[39:40], v[24:25], v[28:29]
	v_add_f64 v[43:44], v[24:25], -v[28:29]
	v_add_f64 v[16:17], v[160:161], -v[136:137]
	v_add_f64 v[56:57], v[0:1], v[8:9]
	v_add_f64 v[58:59], v[2:3], v[4:5]
	v_add_f64 v[33:34], v[0:1], -v[8:9]
	v_add_f64 v[35:36], v[2:3], -v[4:5]
	;; [unrolled: 1-line block ×6, first 2 shown]
	s_delay_alu instid0(VALU_DEP_3) | instskip(SKIP_1) | instid1(VALU_DEP_1)
	v_add_f64 v[0:1], v[0:1], v[2:3]
	v_add_f64 v[2:3], v[134:135], -v[156:157]
	v_add_f64 v[2:3], v[2:3], v[4:5]
	v_add_f64 v[4:5], v[136:137], -v[160:161]
	s_delay_alu instid0(VALU_DEP_2) | instskip(NEXT) | instid1(VALU_DEP_2)
	v_fma_f64 v[14:15], v[2:3], s[14:15], v[14:15]
	v_add_f64 v[4:5], v[4:5], v[6:7]
	v_add_f64 v[6:7], v[145:146], -v[162:163]
	s_delay_alu instid0(VALU_DEP_1) | instskip(SKIP_1) | instid1(VALU_DEP_1)
	v_add_f64 v[6:7], v[6:7], v[8:9]
	v_add_f64 v[8:9], v[160:161], v[240:241]
	v_fma_f64 v[88:89], v[8:9], -0.5, v[193:194]
	v_add_f64 v[8:9], v[162:163], v[84:85]
	s_delay_alu instid0(VALU_DEP_2) | instskip(NEXT) | instid1(VALU_DEP_2)
	v_fma_f64 v[10:11], v[107:108], s[18:19], v[88:89]
	v_fma_f64 v[100:101], v[8:9], -0.5, v[158:159]
	s_delay_alu instid0(VALU_DEP_2) | instskip(NEXT) | instid1(VALU_DEP_2)
	v_fma_f64 v[10:11], v[109:110], s[12:13], v[10:11]
	v_fma_f64 v[8:9], v[102:103], s[20:21], v[100:101]
	s_delay_alu instid0(VALU_DEP_2) | instskip(NEXT) | instid1(VALU_DEP_2)
	v_fma_f64 v[10:11], v[4:5], s[14:15], v[10:11]
	v_fma_f64 v[8:9], v[105:106], s[16:17], v[8:9]
	s_delay_alu instid0(VALU_DEP_1) | instskip(NEXT) | instid1(VALU_DEP_1)
	v_fma_f64 v[8:9], v[6:7], s[14:15], v[8:9]
	v_mul_f64 v[12:13], v[8:9], s[12:13]
	s_delay_alu instid0(VALU_DEP_1) | instskip(SKIP_1) | instid1(VALU_DEP_1)
	v_fma_f64 v[12:13], v[10:11], s[22:23], v[12:13]
	v_mul_f64 v[10:11], v[10:11], s[16:17]
	v_fma_f64 v[8:9], v[8:9], s[22:23], v[10:11]
	v_fma_f64 v[10:11], v[111:112], s[18:19], v[140:141]
	s_delay_alu instid0(VALU_DEP_2) | instskip(NEXT) | instid1(VALU_DEP_2)
	v_add_f64 v[26:27], v[14:15], v[8:9]
	v_fma_f64 v[10:11], v[113:114], s[12:13], v[10:11]
	v_add_f64 v[30:31], v[14:15], -v[8:9]
	v_add_f64 v[8:9], v[147:148], -v[154:155]
	;; [unrolled: 1-line block ×3, first 2 shown]
	s_delay_alu instid0(VALU_DEP_4) | instskip(NEXT) | instid1(VALU_DEP_1)
	v_fma_f64 v[10:11], v[0:1], s[14:15], v[10:11]
	v_add_f64 v[24:25], v[10:11], v[12:13]
	v_add_f64 v[28:29], v[10:11], -v[12:13]
	v_add_f64 v[10:11], v[123:124], -v[72:73]
	v_add_f64 v[72:73], v[145:146], v[53:54]
	v_add_f64 v[12:13], v[156:157], -v[134:135]
	v_add_f64 v[53:54], v[84:85], -v[53:54]
	s_delay_alu instid0(VALU_DEP_4) | instskip(NEXT) | instid1(VALU_DEP_4)
	v_add_f64 v[8:9], v[8:9], v[10:11]
	v_fma_f64 v[72:73], v[72:73], -0.5, v[158:159]
	s_delay_alu instid0(VALU_DEP_4) | instskip(SKIP_4) | instid1(VALU_DEP_4)
	v_add_f64 v[10:11], v[12:13], v[14:15]
	v_fma_f64 v[12:13], v[18:19], -0.5, v[193:194]
	v_add_f64 v[14:15], v[16:17], v[20:21]
	v_add_f64 v[53:54], v[22:23], v[53:54]
	v_fma_f64 v[16:17], v[105:106], s[18:19], v[72:73]
	v_fma_f64 v[18:19], v[109:110], s[20:21], v[12:13]
	s_delay_alu instid0(VALU_DEP_2) | instskip(NEXT) | instid1(VALU_DEP_2)
	v_fma_f64 v[16:17], v[102:103], s[16:17], v[16:17]
	v_fma_f64 v[18:19], v[107:108], s[12:13], v[18:19]
	s_delay_alu instid0(VALU_DEP_2) | instskip(NEXT) | instid1(VALU_DEP_2)
	v_fma_f64 v[16:17], v[53:54], s[14:15], v[16:17]
	v_fma_f64 v[18:19], v[14:15], s[14:15], v[18:19]
	s_delay_alu instid0(VALU_DEP_2) | instskip(NEXT) | instid1(VALU_DEP_1)
	v_mul_f64 v[20:21], v[16:17], s[18:19]
	v_fma_f64 v[20:21], v[18:19], s[14:15], v[20:21]
	v_mul_f64 v[18:19], v[18:19], s[20:21]
	s_delay_alu instid0(VALU_DEP_1) | instskip(SKIP_2) | instid1(VALU_DEP_2)
	v_fma_f64 v[22:23], v[16:17], s[14:15], v[18:19]
	v_fma_f64 v[16:17], v[113:114], s[20:21], v[212:213]
	;; [unrolled: 1-line block ×4, first 2 shown]
	s_delay_alu instid0(VALU_DEP_2) | instskip(NEXT) | instid1(VALU_DEP_2)
	v_fma_f64 v[18:19], v[115:116], s[16:17], v[18:19]
	v_fma_f64 v[74:75], v[8:9], s[14:15], v[16:17]
	s_delay_alu instid0(VALU_DEP_2) | instskip(NEXT) | instid1(VALU_DEP_2)
	v_fma_f64 v[84:85], v[10:11], s[14:15], v[18:19]
	v_add_f64 v[16:17], v[74:75], v[20:21]
	v_add_f64 v[20:21], v[74:75], -v[20:21]
	v_fma_f64 v[74:75], v[113:114], s[18:19], v[212:213]
	s_delay_alu instid0(VALU_DEP_4) | instskip(SKIP_1) | instid1(VALU_DEP_3)
	v_add_f64 v[18:19], v[84:85], v[22:23]
	v_add_f64 v[22:23], v[84:85], -v[22:23]
	v_fma_f64 v[74:75], v[111:112], s[16:17], v[74:75]
	s_delay_alu instid0(VALU_DEP_1) | instskip(SKIP_1) | instid1(VALU_DEP_1)
	v_fma_f64 v[74:75], v[8:9], s[14:15], v[74:75]
	v_fma_f64 v[8:9], v[117:118], s[20:21], v[170:171]
	;; [unrolled: 1-line block ×3, first 2 shown]
	s_delay_alu instid0(VALU_DEP_1) | instskip(SKIP_3) | instid1(VALU_DEP_3)
	v_fma_f64 v[84:85], v[10:11], s[14:15], v[8:9]
	v_fma_f64 v[8:9], v[109:110], s[18:19], v[12:13]
	;; [unrolled: 1-line block ×5, first 2 shown]
	s_delay_alu instid0(VALU_DEP_3) | instskip(NEXT) | instid1(VALU_DEP_3)
	v_fma_f64 v[10:11], v[102:103], s[12:13], v[10:11]
	v_fma_f64 v[72:73], v[113:114], s[16:17], v[72:73]
	s_delay_alu instid0(VALU_DEP_3) | instskip(NEXT) | instid1(VALU_DEP_3)
	v_fma_f64 v[8:9], v[14:15], s[14:15], v[8:9]
	v_fma_f64 v[10:11], v[53:54], s[14:15], v[10:11]
	;; [unrolled: 1-line block ×3, first 2 shown]
	s_delay_alu instid0(VALU_DEP_3) | instskip(NEXT) | instid1(VALU_DEP_2)
	v_mul_f64 v[12:13], v[8:9], s[24:25]
	v_fma_f64 v[53:54], v[109:110], s[16:17], v[53:54]
	s_delay_alu instid0(VALU_DEP_2) | instskip(SKIP_1) | instid1(VALU_DEP_3)
	v_fma_f64 v[12:13], v[10:11], s[18:19], v[12:13]
	v_mul_f64 v[10:11], v[10:11], s[24:25]
	v_fma_f64 v[4:5], v[4:5], s[14:15], v[53:54]
	v_fma_f64 v[53:54], v[0:1], s[14:15], v[72:73]
	s_delay_alu instid0(VALU_DEP_3) | instskip(SKIP_3) | instid1(VALU_DEP_4)
	v_fma_f64 v[14:15], v[8:9], s[20:21], v[10:11]
	v_add_f64 v[8:9], v[74:75], v[12:13]
	v_add_f64 v[12:13], v[74:75], -v[12:13]
	v_fma_f64 v[74:75], v[115:116], s[18:19], v[172:173]
	v_add_f64 v[10:11], v[84:85], v[14:15]
	v_add_f64 v[14:15], v[84:85], -v[14:15]
	v_fma_f64 v[84:85], v[102:103], s[18:19], v[100:101]
	s_delay_alu instid0(VALU_DEP_4) | instskip(NEXT) | instid1(VALU_DEP_2)
	v_fma_f64 v[74:75], v[117:118], s[12:13], v[74:75]
	v_fma_f64 v[84:85], v[105:106], s[12:13], v[84:85]
	s_delay_alu instid0(VALU_DEP_2) | instskip(SKIP_1) | instid1(VALU_DEP_3)
	v_fma_f64 v[72:73], v[2:3], s[14:15], v[74:75]
	v_mul_f64 v[2:3], v[4:5], s[26:27]
	v_fma_f64 v[0:1], v[6:7], s[14:15], v[84:85]
	s_delay_alu instid0(VALU_DEP_1) | instskip(SKIP_1) | instid1(VALU_DEP_1)
	v_fma_f64 v[6:7], v[0:1], s[12:13], v[2:3]
	v_mul_f64 v[0:1], v[0:1], s[26:27]
	v_fma_f64 v[74:75], v[4:5], s[16:17], v[0:1]
	s_delay_alu instid0(VALU_DEP_3) | instskip(SKIP_2) | instid1(VALU_DEP_1)
	v_add_f64 v[0:1], v[53:54], v[6:7]
	v_add_f64 v[4:5], v[53:54], -v[6:7]
	v_and_b32_e32 v53, 0xffff, v242
	v_mul_u32_u24_e32 v53, 0x12c, v53
	s_delay_alu instid0(VALU_DEP_1)
	v_add_lshl_u32 v142, v53, v104, 4
	ds_store_b128 v142, v[248:251]
	ds_store_b128 v142, v[92:95] offset:480
	ds_store_b128 v142, v[45:48] offset:960
	;; [unrolled: 1-line block ×9, first 2 shown]
	v_mad_u16 v33, 0x12c, v125, v55
	s_delay_alu instid0(VALU_DEP_1) | instskip(NEXT) | instid1(VALU_DEP_1)
	v_and_b32_e32 v33, 0xffff, v33
	v_lshlrev_b32_e32 v160, 4, v33
	v_add_f64 v[2:3], v[72:73], v[74:75]
	v_add_f64 v[6:7], v[72:73], -v[74:75]
	ds_store_b128 v160, v[252:255]
	ds_store_b128 v160, v[24:27] offset:480
	ds_store_b128 v160, v[16:19] offset:960
	;; [unrolled: 1-line block ×9, first 2 shown]
	scratch_load_b32 v175, off, off offset:1780 ; 4-byte Folded Reload
	s_waitcnt vmcnt(0) lgkmcnt(0)
	s_barrier
	buffer_gl0_inv
	v_lshlrev_b32_e32 v0, 5, v175
	s_delay_alu instid0(VALU_DEP_1) | instskip(NEXT) | instid1(VALU_DEP_1)
	v_add_co_u32 v105, s28, s10, v0
	v_add_co_ci_u32_e64 v106, null, s11, 0, s28
	s_delay_alu instid0(VALU_DEP_2) | instskip(NEXT) | instid1(VALU_DEP_2)
	v_add_co_u32 v0, vcc_lo, 0x1290, v105
	v_add_co_ci_u32_e32 v1, vcc_lo, 0, v106, vcc_lo
	v_add_co_u32 v6, vcc_lo, 0x1000, v105
	v_add_co_ci_u32_e32 v7, vcc_lo, 0, v106, vcc_lo
	s_clause 0x1
	global_load_b128 v[16:19], v[0:1], off offset:16
	global_load_b128 v[12:15], v[6:7], off offset:656
	ds_load_b128 v[0:3], v32 offset:14400
	ds_load_b128 v[8:11], v32 offset:12960
	s_waitcnt vmcnt(0) lgkmcnt(1)
	v_mul_f64 v[4:5], v[2:3], v[14:15]
	scratch_store_b128 off, v[12:15], off offset:528 ; 16-byte Folded Spill
	v_fma_f64 v[24:25], v[0:1], v[12:13], -v[4:5]
	v_mul_f64 v[0:1], v[0:1], v[14:15]
	s_delay_alu instid0(VALU_DEP_1) | instskip(SKIP_4) | instid1(VALU_DEP_1)
	v_fma_f64 v[26:27], v[2:3], v[12:13], v[0:1]
	ds_load_b128 v[0:3], v32 offset:28800
	ds_load_b128 v[12:15], v32 offset:27360
	s_waitcnt lgkmcnt(1)
	v_mul_f64 v[4:5], v[2:3], v[18:19]
	v_fma_f64 v[28:29], v[0:1], v[16:17], -v[4:5]
	v_mul_f64 v[0:1], v[0:1], v[18:19]
	v_lshlrev_b32_e32 v4, 5, v144
	s_delay_alu instid0(VALU_DEP_2) | instskip(SKIP_1) | instid1(VALU_DEP_1)
	v_fma_f64 v[0:1], v[2:3], v[16:17], v[0:1]
	v_lshlrev_b32_e32 v2, 5, v214
	v_add_co_u32 v123, s28, s10, v2
	s_delay_alu instid0(VALU_DEP_1) | instskip(SKIP_1) | instid1(VALU_DEP_3)
	v_add_co_ci_u32_e64 v53, null, s11, 0, s28
	v_add_co_u32 v98, s28, s10, v4
	v_add_co_u32 v2, vcc_lo, 0x1000, v123
	s_delay_alu instid0(VALU_DEP_3) | instskip(SKIP_1) | instid1(VALU_DEP_4)
	v_add_co_ci_u32_e32 v3, vcc_lo, 0, v53, vcc_lo
	v_add_co_ci_u32_e64 v99, null, s11, 0, s28
	v_add_co_u32 v4, vcc_lo, 0x1290, v98
	global_load_b128 v[33:36], v[2:3], off offset:656
	v_add_co_ci_u32_e32 v5, vcc_lo, 0, v99, vcc_lo
	global_load_b128 v[41:44], v[4:5], off offset:16
	scratch_store_b128 off, v[16:19], off offset:512 ; 16-byte Folded Spill
	s_waitcnt vmcnt(1)
	scratch_store_b128 off, v[33:36], off offset:544 ; 16-byte Folded Spill
	ds_load_b128 v[16:19], v32 offset:15840
	ds_load_b128 v[20:23], v32 offset:17280
	global_load_b128 v[47:50], v[6:7], off offset:2576
	s_waitcnt lgkmcnt(1)
	v_mul_f64 v[4:5], v[16:17], v[35:36]
	v_mul_f64 v[2:3], v[18:19], v[35:36]
	s_delay_alu instid0(VALU_DEP_2) | instskip(SKIP_2) | instid1(VALU_DEP_4)
	v_fma_f64 v[30:31], v[18:19], v[33:34], v[4:5]
	v_add_co_u32 v4, vcc_lo, 0x1290, v123
	v_add_co_ci_u32_e32 v5, vcc_lo, 0, v53, vcc_lo
	v_fma_f64 v[2:3], v[16:17], v[33:34], -v[2:3]
	v_cmp_gt_u16_e64 vcc_lo, 30, v143
	global_load_b128 v[35:38], v[4:5], off offset:16
	s_waitcnt vmcnt(0)
	scratch_store_b128 off, v[35:38], off offset:560 ; 16-byte Folded Spill
	ds_load_b128 v[4:7], v32 offset:30240
	ds_load_b128 v[16:19], v32 offset:31680
	scratch_load_b32 v137, off, off offset:832 ; 4-byte Folded Reload
	s_waitcnt lgkmcnt(1)
	v_mul_f64 v[33:34], v[6:7], v[37:38]
	s_delay_alu instid0(VALU_DEP_1) | instskip(SKIP_1) | instid1(VALU_DEP_1)
	v_fma_f64 v[33:34], v[4:5], v[35:36], -v[33:34]
	v_mul_f64 v[4:5], v[4:5], v[37:38]
	v_fma_f64 v[35:36], v[6:7], v[35:36], v[4:5]
	scratch_load_b32 v6, off, off offset:576 ; 4-byte Folded Reload
	v_add_co_u32 v4, s28, 0xffffffe2, v175
	s_delay_alu instid0(VALU_DEP_1) | instskip(SKIP_1) | instid1(VALU_DEP_1)
	v_add_co_ci_u32_e64 v5, null, 0, -1, s28
	s_waitcnt vmcnt(0)
	v_dual_cndmask_b32 v115, v4, v137 :: v_dual_cndmask_b32 v116, v5, v6
	s_delay_alu instid0(VALU_DEP_1) | instskip(NEXT) | instid1(VALU_DEP_1)
	v_lshlrev_b64 v[4:5], 5, v[115:116]
	v_add_co_u32 v45, vcc_lo, s10, v4
	s_delay_alu instid0(VALU_DEP_2) | instskip(SKIP_2) | instid1(VALU_DEP_4)
	v_add_co_ci_u32_e32 v46, vcc_lo, s11, v5, vcc_lo
	v_add_co_u32 v4, vcc_lo, 0x1000, v98
	v_add_co_ci_u32_e32 v5, vcc_lo, 0, v99, vcc_lo
	v_add_co_u32 v6, vcc_lo, 0x1290, v45
	s_delay_alu instid0(VALU_DEP_4)
	v_add_co_ci_u32_e32 v7, vcc_lo, 0, v46, vcc_lo
	s_clause 0x1
	global_load_b128 v[54:57], v[4:5], off offset:656
	global_load_b128 v[60:63], v[6:7], off offset:16
	s_waitcnt vmcnt(1)
	v_mul_f64 v[4:5], v[22:23], v[56:57]
	s_delay_alu instid0(VALU_DEP_1) | instskip(SKIP_1) | instid1(VALU_DEP_1)
	v_fma_f64 v[37:38], v[20:21], v[54:55], -v[4:5]
	v_mul_f64 v[4:5], v[20:21], v[56:57]
	v_fma_f64 v[39:40], v[22:23], v[54:55], v[4:5]
	v_mov_b32_e32 v20, v41
	v_dual_mov_b32 v22, v43 :: v_dual_mov_b32 v23, v44
	v_mov_b32_e32 v21, v42
	scratch_store_b128 off, v[54:57], off offset:576 ; 16-byte Folded Spill
	s_waitcnt lgkmcnt(0)
	v_mul_f64 v[4:5], v[18:19], v[22:23]
	scratch_store_b128 off, v[20:23], off offset:592 ; 16-byte Folded Spill
	v_fma_f64 v[41:42], v[16:17], v[20:21], -v[4:5]
	v_mul_f64 v[4:5], v[16:17], v[22:23]
	s_delay_alu instid0(VALU_DEP_1)
	v_fma_f64 v[43:44], v[18:19], v[20:21], v[4:5]
	v_add_co_u32 v4, vcc_lo, 0x1000, v45
	v_add_co_ci_u32_e32 v5, vcc_lo, 0, v46, vcc_lo
	v_add_co_u32 v6, vcc_lo, 0x1a10, v105
	v_add_co_ci_u32_e32 v7, vcc_lo, 0, v106, vcc_lo
	s_clause 0x1
	global_load_b128 v[56:59], v[4:5], off offset:656
	global_load_b128 v[66:69], v[6:7], off offset:16
	s_waitcnt vmcnt(1)
	scratch_store_b128 off, v[56:59], off offset:656 ; 16-byte Folded Spill
	ds_load_b128 v[4:7], v32 offset:18720
	ds_load_b128 v[16:19], v32 offset:20160
	s_waitcnt lgkmcnt(1)
	v_mul_f64 v[20:21], v[6:7], v[58:59]
	s_delay_alu instid0(VALU_DEP_1) | instskip(SKIP_1) | instid1(VALU_DEP_1)
	v_fma_f64 v[54:55], v[4:5], v[56:57], -v[20:21]
	v_mul_f64 v[4:5], v[4:5], v[58:59]
	v_fma_f64 v[56:57], v[6:7], v[56:57], v[4:5]
	ds_load_b128 v[4:7], v32 offset:33120
	ds_load_b128 v[20:23], v32 offset:34560
	s_clause 0x1
	scratch_store_b128 off, v[60:63], off offset:608
	scratch_store_b128 off, v[47:50], off offset:624
	s_waitcnt lgkmcnt(1)
	v_mul_f64 v[45:46], v[6:7], v[62:63]
	s_delay_alu instid0(VALU_DEP_1) | instskip(SKIP_1) | instid1(VALU_DEP_1)
	v_fma_f64 v[58:59], v[4:5], v[60:61], -v[45:46]
	v_mul_f64 v[4:5], v[4:5], v[62:63]
	v_fma_f64 v[60:61], v[6:7], v[60:61], v[4:5]
	v_mul_f64 v[4:5], v[18:19], v[49:50]
	s_delay_alu instid0(VALU_DEP_1) | instskip(SKIP_1) | instid1(VALU_DEP_1)
	v_fma_f64 v[62:63], v[16:17], v[47:48], -v[4:5]
	v_mul_f64 v[4:5], v[16:17], v[49:50]
	v_fma_f64 v[64:65], v[18:19], v[47:48], v[4:5]
	s_waitcnt vmcnt(0)
	v_mov_b32_e32 v16, v66
	v_dual_mov_b32 v18, v68 :: v_dual_mov_b32 v19, v69
	v_mov_b32_e32 v17, v67
	s_waitcnt lgkmcnt(0)
	s_delay_alu instid0(VALU_DEP_2) | instskip(NEXT) | instid1(VALU_DEP_1)
	v_mul_f64 v[4:5], v[22:23], v[18:19]
	v_fma_f64 v[66:67], v[20:21], v[16:17], -v[4:5]
	v_mul_f64 v[4:5], v[20:21], v[18:19]
	s_delay_alu instid0(VALU_DEP_1)
	v_fma_f64 v[68:69], v[22:23], v[16:17], v[4:5]
	v_add_co_u32 v4, vcc_lo, 0x2000, v105
	v_add_co_ci_u32_e32 v5, vcc_lo, 0, v106, vcc_lo
	v_add_co_u32 v6, vcc_lo, 0x2550, v105
	v_add_co_ci_u32_e32 v7, vcc_lo, 0, v106, vcc_lo
	s_clause 0x1
	global_load_b128 v[70:73], v[4:5], off offset:1360
	global_load_b128 v[47:50], v[6:7], off offset:16
	scratch_store_b128 off, v[16:19], off offset:640 ; 16-byte Folded Spill
	s_waitcnt vmcnt(1)
	scratch_store_b128 off, v[70:73], off offset:720 ; 16-byte Folded Spill
	s_waitcnt vmcnt(0)
	scratch_store_b128 off, v[47:50], off offset:704 ; 16-byte Folded Spill
	ds_load_b128 v[4:7], v32 offset:21600
	ds_load_b128 v[16:19], v32 offset:23040
	s_waitcnt lgkmcnt(1)
	v_mul_f64 v[20:21], v[6:7], v[72:73]
	s_delay_alu instid0(VALU_DEP_1) | instskip(SKIP_1) | instid1(VALU_DEP_1)
	v_fma_f64 v[78:79], v[4:5], v[70:71], -v[20:21]
	v_mul_f64 v[4:5], v[4:5], v[72:73]
	v_fma_f64 v[80:81], v[6:7], v[70:71], v[4:5]
	ds_load_b128 v[4:7], v32 offset:36000
	ds_load_b128 v[20:23], v32 offset:37440
	s_clause 0x1
	scratch_load_b32 v141, off, off offset:960
	scratch_load_b32 v140, off, off offset:1024
	s_waitcnt lgkmcnt(1)
	v_mul_f64 v[45:46], v[6:7], v[49:50]
	s_delay_alu instid0(VALU_DEP_1) | instskip(SKIP_1) | instid1(VALU_DEP_1)
	v_fma_f64 v[82:83], v[4:5], v[47:48], -v[45:46]
	v_mul_f64 v[4:5], v[4:5], v[49:50]
	v_fma_f64 v[84:85], v[6:7], v[47:48], v[4:5]
	s_waitcnt vmcnt(1)
	v_lshrrev_b16 v4, 2, v141
	s_delay_alu instid0(VALU_DEP_1) | instskip(NEXT) | instid1(VALU_DEP_1)
	v_and_b32_e32 v4, 0xffff, v4
	v_mul_u32_u24_e32 v4, 0x6d3b, v4
	s_delay_alu instid0(VALU_DEP_1) | instskip(NEXT) | instid1(VALU_DEP_1)
	v_lshrrev_b32_e32 v104, 21, v4
	v_mul_lo_u16 v4, 0x12c, v104
	s_delay_alu instid0(VALU_DEP_1) | instskip(NEXT) | instid1(VALU_DEP_1)
	v_sub_nc_u16 v122, v141, v4
	v_lshlrev_b16 v4, 5, v122
	s_delay_alu instid0(VALU_DEP_1) | instskip(NEXT) | instid1(VALU_DEP_1)
	v_and_b32_e32 v4, 0xffff, v4
	v_add_co_u32 v6, s28, s10, v4
	s_delay_alu instid0(VALU_DEP_1) | instskip(NEXT) | instid1(VALU_DEP_2)
	v_add_co_ci_u32_e64 v7, null, s11, 0, s28
	v_add_co_u32 v4, vcc_lo, 0x1000, v6
	s_delay_alu instid0(VALU_DEP_2)
	v_add_co_ci_u32_e32 v5, vcc_lo, 0, v7, vcc_lo
	v_add_co_u32 v6, vcc_lo, 0x1290, v6
	v_add_co_ci_u32_e32 v7, vcc_lo, 0, v7, vcc_lo
	s_clause 0x1
	global_load_b128 v[49:52], v[4:5], off offset:656
	global_load_b128 v[45:48], v[6:7], off offset:16
	s_waitcnt vmcnt(1)
	v_mul_f64 v[4:5], v[18:19], v[51:52]
	scratch_store_b128 off, v[49:52], off offset:816 ; 16-byte Folded Spill
	s_waitcnt vmcnt(0)
	scratch_store_b128 off, v[45:48], off offset:800 ; 16-byte Folded Spill
	v_fma_f64 v[86:87], v[16:17], v[49:50], -v[4:5]
	v_mul_f64 v[4:5], v[16:17], v[51:52]
	s_delay_alu instid0(VALU_DEP_1) | instskip(SKIP_2) | instid1(VALU_DEP_1)
	v_fma_f64 v[88:89], v[18:19], v[49:50], v[4:5]
	s_waitcnt lgkmcnt(0)
	v_mul_f64 v[4:5], v[22:23], v[47:48]
	v_fma_f64 v[90:91], v[20:21], v[45:46], -v[4:5]
	v_mul_f64 v[4:5], v[20:21], v[47:48]
	s_delay_alu instid0(VALU_DEP_1) | instskip(SKIP_1) | instid1(VALU_DEP_1)
	v_fma_f64 v[92:93], v[22:23], v[45:46], v[4:5]
	v_lshrrev_b16 v4, 2, v140
	v_and_b32_e32 v4, 0xffff, v4
	s_delay_alu instid0(VALU_DEP_1) | instskip(NEXT) | instid1(VALU_DEP_1)
	v_mul_u32_u24_e32 v4, 0x6d3b, v4
	v_lshrrev_b32_e32 v4, 21, v4
	s_delay_alu instid0(VALU_DEP_1) | instskip(NEXT) | instid1(VALU_DEP_1)
	v_mul_lo_u16 v4, 0x12c, v4
	v_sub_nc_u16 v134, v140, v4
	s_delay_alu instid0(VALU_DEP_1) | instskip(NEXT) | instid1(VALU_DEP_1)
	v_lshlrev_b16 v4, 5, v134
	v_and_b32_e32 v4, 0xffff, v4
	s_delay_alu instid0(VALU_DEP_1) | instskip(NEXT) | instid1(VALU_DEP_1)
	v_add_co_u32 v6, s28, s10, v4
	v_add_co_ci_u32_e64 v7, null, s11, 0, s28
	s_delay_alu instid0(VALU_DEP_2) | instskip(NEXT) | instid1(VALU_DEP_2)
	v_add_co_u32 v4, vcc_lo, 0x1000, v6
	v_add_co_ci_u32_e32 v5, vcc_lo, 0, v7, vcc_lo
	v_add_co_u32 v6, vcc_lo, 0x1290, v6
	v_add_co_ci_u32_e32 v7, vcc_lo, 0, v7, vcc_lo
	s_clause 0x1
	global_load_b128 v[70:73], v[4:5], off offset:656
	global_load_b128 v[47:50], v[6:7], off offset:16
	s_waitcnt vmcnt(1)
	scratch_store_b128 off, v[70:73], off offset:912 ; 16-byte Folded Spill
	s_waitcnt vmcnt(0)
	scratch_store_b128 off, v[47:50], off offset:896 ; 16-byte Folded Spill
	ds_load_b128 v[4:7], v32 offset:24480
	ds_load_b128 v[16:19], v32 offset:25920
	s_waitcnt lgkmcnt(1)
	v_mul_f64 v[20:21], v[6:7], v[72:73]
	s_delay_alu instid0(VALU_DEP_1) | instskip(SKIP_1) | instid1(VALU_DEP_1)
	v_fma_f64 v[100:101], v[4:5], v[70:71], -v[20:21]
	v_mul_f64 v[4:5], v[4:5], v[72:73]
	v_fma_f64 v[102:103], v[6:7], v[70:71], v[4:5]
	ds_load_b128 v[4:7], v32 offset:38880
	ds_load_b128 v[20:23], v32 offset:40320
	s_clause 0x1
	scratch_load_b32 v139, off, off offset:1072
	scratch_load_b32 v138, off, off offset:1776
	s_waitcnt lgkmcnt(1)
	v_mul_f64 v[45:46], v[6:7], v[49:50]
	s_delay_alu instid0(VALU_DEP_1) | instskip(SKIP_1) | instid1(VALU_DEP_1)
	v_fma_f64 v[107:108], v[4:5], v[47:48], -v[45:46]
	v_mul_f64 v[4:5], v[4:5], v[49:50]
	v_fma_f64 v[109:110], v[6:7], v[47:48], v[4:5]
	s_waitcnt vmcnt(1)
	v_lshrrev_b16 v4, 2, v139
	s_delay_alu instid0(VALU_DEP_1) | instskip(NEXT) | instid1(VALU_DEP_1)
	v_and_b32_e32 v4, 0xffff, v4
	v_mul_u32_u24_e32 v4, 0x6d3b, v4
	s_delay_alu instid0(VALU_DEP_1) | instskip(NEXT) | instid1(VALU_DEP_1)
	v_lshrrev_b32_e32 v4, 21, v4
	v_mul_lo_u16 v4, 0x12c, v4
	s_delay_alu instid0(VALU_DEP_1) | instskip(NEXT) | instid1(VALU_DEP_1)
	v_sub_nc_u16 v135, v139, v4
	v_lshlrev_b16 v4, 5, v135
	s_delay_alu instid0(VALU_DEP_1) | instskip(NEXT) | instid1(VALU_DEP_1)
	v_and_b32_e32 v4, 0xffff, v4
	v_add_co_u32 v6, s28, s10, v4
	s_delay_alu instid0(VALU_DEP_1) | instskip(NEXT) | instid1(VALU_DEP_2)
	v_add_co_ci_u32_e64 v7, null, s11, 0, s28
	v_add_co_u32 v4, vcc_lo, 0x1000, v6
	s_delay_alu instid0(VALU_DEP_2)
	v_add_co_ci_u32_e32 v5, vcc_lo, 0, v7, vcc_lo
	v_add_co_u32 v6, vcc_lo, 0x1290, v6
	v_add_co_ci_u32_e32 v7, vcc_lo, 0, v7, vcc_lo
	s_clause 0x1
	global_load_b128 v[49:52], v[4:5], off offset:656
	global_load_b128 v[45:48], v[6:7], off offset:16
	s_waitcnt vmcnt(1)
	v_mul_f64 v[4:5], v[18:19], v[51:52]
	scratch_store_b128 off, v[49:52], off offset:1008 ; 16-byte Folded Spill
	s_waitcnt vmcnt(0)
	scratch_store_b128 off, v[45:48], off offset:992 ; 16-byte Folded Spill
	v_fma_f64 v[116:117], v[16:17], v[49:50], -v[4:5]
	v_mul_f64 v[4:5], v[16:17], v[51:52]
	s_delay_alu instid0(VALU_DEP_1) | instskip(SKIP_2) | instid1(VALU_DEP_1)
	v_fma_f64 v[118:119], v[18:19], v[49:50], v[4:5]
	s_waitcnt lgkmcnt(0)
	v_mul_f64 v[4:5], v[22:23], v[47:48]
	v_fma_f64 v[120:121], v[20:21], v[45:46], -v[4:5]
	v_mul_f64 v[4:5], v[20:21], v[47:48]
	s_delay_alu instid0(VALU_DEP_1) | instskip(SKIP_1) | instid1(VALU_DEP_1)
	v_fma_f64 v[124:125], v[22:23], v[45:46], v[4:5]
	v_lshrrev_b16 v4, 2, v138
	v_and_b32_e32 v4, 0xffff, v4
	s_delay_alu instid0(VALU_DEP_1) | instskip(NEXT) | instid1(VALU_DEP_1)
	v_mul_u32_u24_e32 v4, 0x6d3b, v4
	v_lshrrev_b32_e32 v4, 21, v4
	s_delay_alu instid0(VALU_DEP_1) | instskip(NEXT) | instid1(VALU_DEP_1)
	v_mul_lo_u16 v4, 0x12c, v4
	v_sub_nc_u16 v136, v138, v4
	s_delay_alu instid0(VALU_DEP_1) | instskip(NEXT) | instid1(VALU_DEP_1)
	v_lshlrev_b16 v4, 5, v136
	v_and_b32_e32 v4, 0xffff, v4
	s_delay_alu instid0(VALU_DEP_1) | instskip(NEXT) | instid1(VALU_DEP_1)
	v_add_co_u32 v6, s28, s10, v4
	v_add_co_ci_u32_e64 v7, null, s11, 0, s28
	s_delay_alu instid0(VALU_DEP_2) | instskip(NEXT) | instid1(VALU_DEP_2)
	v_add_co_u32 v4, vcc_lo, 0x1000, v6
	v_add_co_ci_u32_e32 v5, vcc_lo, 0, v7, vcc_lo
	v_add_co_u32 v6, vcc_lo, 0x1290, v6
	v_add_co_ci_u32_e32 v7, vcc_lo, 0, v7, vcc_lo
	s_clause 0x1
	global_load_b128 v[248:251], v[4:5], off offset:656
	global_load_b128 v[18:21], v[6:7], off offset:16
	v_cmp_lt_u16_e64 vcc_lo, 29, v143
	s_waitcnt vmcnt(1)
	v_mul_f64 v[4:5], v[14:15], v[250:251]
	s_waitcnt vmcnt(0)
	scratch_store_b128 off, v[18:21], off offset:1056 ; 16-byte Folded Spill
	v_fma_f64 v[126:127], v[12:13], v[248:249], -v[4:5]
	v_mul_f64 v[4:5], v[12:13], v[250:251]
	s_delay_alu instid0(VALU_DEP_1) | instskip(SKIP_4) | instid1(VALU_DEP_1)
	v_fma_f64 v[128:129], v[14:15], v[248:249], v[4:5]
	ds_load_b128 v[4:7], v32 offset:41760
	ds_load_b128 v[12:15], v32
	s_waitcnt lgkmcnt(1)
	v_mul_f64 v[16:17], v[6:7], v[20:21]
	v_fma_f64 v[130:131], v[4:5], v[18:19], -v[16:17]
	v_mul_f64 v[4:5], v[4:5], v[20:21]
	s_delay_alu instid0(VALU_DEP_1) | instskip(SKIP_2) | instid1(VALU_DEP_1)
	v_fma_f64 v[132:133], v[6:7], v[18:19], v[4:5]
	v_add_f64 v[4:5], v[24:25], v[28:29]
	s_waitcnt lgkmcnt(0)
	v_fma_f64 v[16:17], v[4:5], -0.5, v[12:13]
	v_add_f64 v[4:5], v[26:27], v[0:1]
	v_add_f64 v[12:13], v[12:13], v[24:25]
	s_delay_alu instid0(VALU_DEP_2) | instskip(SKIP_2) | instid1(VALU_DEP_2)
	v_fma_f64 v[18:19], v[4:5], -0.5, v[14:15]
	v_add_f64 v[4:5], v[14:15], v[26:27]
	v_add_f64 v[14:15], v[26:27], -v[0:1]
	v_add_f64 v[6:7], v[4:5], v[0:1]
	v_add_f64 v[0:1], v[24:25], -v[28:29]
	v_add_f64 v[4:5], v[12:13], v[28:29]
	v_add_f64 v[12:13], v[30:31], v[35:36]
	ds_load_b128 v[20:23], v32 offset:1440
	ds_load_b128 v[24:27], v32 offset:2880
	v_fma_f64 v[111:112], v[14:15], s[8:9], v[16:17]
	v_fma_f64 v[16:17], v[14:15], s[2:3], v[16:17]
	ds_load_b128 v[45:48], v32 offset:4320
	ds_load_b128 v[49:52], v32 offset:5760
	;; [unrolled: 1-line block ×6, first 2 shown]
	s_waitcnt lgkmcnt(0)
	s_waitcnt_vscnt null, 0x0
	s_barrier
	buffer_gl0_inv
	v_add_f64 v[14:15], v[22:23], v[30:31]
	v_add_f64 v[30:31], v[30:31], -v[35:36]
	v_fma_f64 v[113:114], v[0:1], s[2:3], v[18:19]
	v_fma_f64 v[18:19], v[0:1], s[8:9], v[18:19]
	v_add_f64 v[0:1], v[2:3], v[33:34]
	v_fma_f64 v[12:13], v[12:13], -0.5, v[22:23]
	v_add_f64 v[22:23], v[14:15], v[35:36]
	v_add_f64 v[14:15], v[24:25], v[37:38]
	s_delay_alu instid0(VALU_DEP_4) | instskip(SKIP_2) | instid1(VALU_DEP_3)
	v_fma_f64 v[0:1], v[0:1], -0.5, v[20:21]
	v_add_f64 v[20:21], v[20:21], v[2:3]
	v_add_f64 v[2:3], v[2:3], -v[33:34]
	v_fma_f64 v[28:29], v[30:31], s[8:9], v[0:1]
	s_delay_alu instid0(VALU_DEP_3) | instskip(SKIP_1) | instid1(VALU_DEP_4)
	v_add_f64 v[20:21], v[20:21], v[33:34]
	v_fma_f64 v[33:34], v[30:31], s[2:3], v[0:1]
	v_fma_f64 v[30:31], v[2:3], s[2:3], v[12:13]
	;; [unrolled: 1-line block ×3, first 2 shown]
	v_add_f64 v[0:1], v[37:38], v[41:42]
	v_add_f64 v[2:3], v[39:40], v[43:44]
	;; [unrolled: 1-line block ×3, first 2 shown]
	v_add_f64 v[39:40], v[39:40], -v[43:44]
	s_delay_alu instid0(VALU_DEP_4) | instskip(NEXT) | instid1(VALU_DEP_4)
	v_fma_f64 v[0:1], v[0:1], -0.5, v[24:25]
	v_fma_f64 v[2:3], v[2:3], -0.5, v[26:27]
	s_delay_alu instid0(VALU_DEP_4)
	v_add_f64 v[26:27], v[12:13], v[43:44]
	v_add_f64 v[12:13], v[37:38], -v[41:42]
	v_add_f64 v[24:25], v[14:15], v[41:42]
	v_add_f64 v[14:15], v[45:46], v[54:55]
	v_fma_f64 v[37:38], v[39:40], s[8:9], v[0:1]
	v_fma_f64 v[41:42], v[39:40], s[2:3], v[0:1]
	v_add_f64 v[0:1], v[54:55], v[58:59]
	v_fma_f64 v[39:40], v[12:13], s[2:3], v[2:3]
	v_fma_f64 v[43:44], v[12:13], s[8:9], v[2:3]
	v_add_f64 v[2:3], v[56:57], v[60:61]
	v_add_f64 v[12:13], v[47:48], v[56:57]
	v_add_f64 v[56:57], v[56:57], -v[60:61]
	ds_store_b128 v32, v[4:7]
	ds_store_b128 v32, v[20:23] offset:1440
	ds_store_b128 v32, v[24:27] offset:2880
	;; [unrolled: 1-line block ×8, first 2 shown]
	v_cndmask_b32_e64 v4, 0, 0x384, vcc_lo
	v_fma_f64 v[0:1], v[0:1], -0.5, v[45:46]
	v_add_f64 v[45:46], v[14:15], v[58:59]
	v_add_f64 v[14:15], v[49:50], v[62:63]
	v_fma_f64 v[2:3], v[2:3], -0.5, v[47:48]
	v_add_f64 v[47:48], v[12:13], v[60:61]
	v_add_f64 v[12:13], v[54:55], -v[58:59]
	v_add_lshl_u32 v213, v115, v4, 4
	v_mad_u16 v4, 0x384, v104, v122
	s_delay_alu instid0(VALU_DEP_1) | instskip(NEXT) | instid1(VALU_DEP_1)
	v_and_b32_e32 v4, 0xffff, v4
	v_lshlrev_b32_e32 v212, 4, v4
	v_and_b32_e32 v4, 0xffff, v134
	s_delay_alu instid0(VALU_DEP_1) | instskip(SKIP_1) | instid1(VALU_DEP_1)
	v_lshlrev_b32_e32 v207, 4, v4
	v_and_b32_e32 v4, 0xffff, v135
	v_lshlrev_b32_e32 v194, 4, v4
	v_and_b32_e32 v4, 0xffff, v136
	s_delay_alu instid0(VALU_DEP_1)
	v_lshlrev_b32_e32 v193, 4, v4
	v_fma_f64 v[54:55], v[56:57], s[8:9], v[0:1]
	v_fma_f64 v[58:59], v[56:57], s[2:3], v[0:1]
	v_add_f64 v[0:1], v[62:63], v[66:67]
	v_fma_f64 v[56:57], v[12:13], s[2:3], v[2:3]
	v_fma_f64 v[60:61], v[12:13], s[8:9], v[2:3]
	v_add_f64 v[2:3], v[64:65], v[68:69]
	v_add_f64 v[12:13], v[51:52], v[64:65]
	v_add_f64 v[64:65], v[64:65], -v[68:69]
	v_fma_f64 v[0:1], v[0:1], -0.5, v[49:50]
	v_add_f64 v[49:50], v[14:15], v[66:67]
	v_add_f64 v[14:15], v[70:71], v[78:79]
	v_fma_f64 v[2:3], v[2:3], -0.5, v[51:52]
	v_add_f64 v[51:52], v[12:13], v[68:69]
	v_add_f64 v[12:13], v[62:63], -v[66:67]
	v_fma_f64 v[62:63], v[64:65], s[8:9], v[0:1]
	v_fma_f64 v[66:67], v[64:65], s[2:3], v[0:1]
	v_add_f64 v[0:1], v[78:79], v[82:83]
	s_delay_alu instid0(VALU_DEP_4)
	v_fma_f64 v[64:65], v[12:13], s[2:3], v[2:3]
	v_fma_f64 v[68:69], v[12:13], s[8:9], v[2:3]
	v_add_f64 v[2:3], v[80:81], v[84:85]
	v_add_f64 v[12:13], v[72:73], v[80:81]
	v_add_f64 v[80:81], v[80:81], -v[84:85]
	v_fma_f64 v[0:1], v[0:1], -0.5, v[70:71]
	v_add_f64 v[70:71], v[14:15], v[82:83]
	v_add_f64 v[14:15], v[74:75], v[86:87]
	v_fma_f64 v[2:3], v[2:3], -0.5, v[72:73]
	v_add_f64 v[72:73], v[12:13], v[84:85]
	v_add_f64 v[12:13], v[78:79], -v[82:83]
	v_fma_f64 v[78:79], v[80:81], s[8:9], v[0:1]
	v_fma_f64 v[82:83], v[80:81], s[2:3], v[0:1]
	v_add_f64 v[0:1], v[86:87], v[90:91]
	s_delay_alu instid0(VALU_DEP_4)
	v_fma_f64 v[80:81], v[12:13], s[2:3], v[2:3]
	v_fma_f64 v[84:85], v[12:13], s[8:9], v[2:3]
	v_add_f64 v[2:3], v[88:89], v[92:93]
	v_add_f64 v[12:13], v[76:77], v[88:89]
	v_add_f64 v[88:89], v[88:89], -v[92:93]
	ds_store_b128 v213, v[45:48]
	ds_store_b128 v213, v[54:57] offset:4800
	ds_store_b128 v213, v[58:61] offset:9600
	;; [unrolled: 1-line block ×8, first 2 shown]
	v_fma_f64 v[0:1], v[0:1], -0.5, v[74:75]
	v_add_f64 v[74:75], v[14:15], v[90:91]
	v_add_f64 v[14:15], v[94:95], v[100:101]
	v_fma_f64 v[2:3], v[2:3], -0.5, v[76:77]
	v_add_f64 v[76:77], v[12:13], v[92:93]
	v_add_f64 v[12:13], v[86:87], -v[90:91]
	v_fma_f64 v[86:87], v[88:89], s[8:9], v[0:1]
	v_fma_f64 v[90:91], v[88:89], s[2:3], v[0:1]
	v_add_f64 v[0:1], v[100:101], v[107:108]
	v_add_f64 v[100:101], v[100:101], -v[107:108]
	v_fma_f64 v[88:89], v[12:13], s[2:3], v[2:3]
	v_fma_f64 v[92:93], v[12:13], s[8:9], v[2:3]
	v_add_f64 v[2:3], v[102:103], v[109:110]
	v_add_f64 v[12:13], v[96:97], v[102:103]
	v_add_f64 v[102:103], v[102:103], -v[109:110]
	ds_store_b128 v212, v[74:77]
	ds_store_b128 v212, v[86:89] offset:4800
	ds_store_b128 v212, v[90:93] offset:9600
	v_fma_f64 v[0:1], v[0:1], -0.5, v[94:95]
	v_add_f64 v[94:95], v[14:15], v[107:108]
	v_fma_f64 v[2:3], v[2:3], -0.5, v[96:97]
	v_add_f64 v[96:97], v[12:13], v[109:110]
	v_add_f64 v[107:108], v[118:119], -v[124:125]
	v_fma_f64 v[12:13], v[102:103], s[8:9], v[0:1]
	v_fma_f64 v[216:217], v[102:103], s[2:3], v[0:1]
	;; [unrolled: 1-line block ×4, first 2 shown]
	v_add_f64 v[0:1], v[116:117], v[120:121]
	v_add_f64 v[2:3], v[118:119], v[124:125]
	;; [unrolled: 1-line block ×4, first 2 shown]
	ds_store_b128 v207, v[94:97] offset:28800
	ds_store_b128 v207, v[12:15] offset:33600
	;; [unrolled: 1-line block ×3, first 2 shown]
	v_fma_f64 v[0:1], v[0:1], -0.5, v[244:245]
	v_fma_f64 v[2:3], v[2:3], -0.5, v[246:247]
	v_add_f64 v[246:247], v[100:101], v[124:125]
	v_add_f64 v[100:101], v[116:117], -v[120:121]
	v_add_f64 v[244:245], v[102:103], v[120:121]
	v_add_f64 v[102:103], v[128:129], -v[132:133]
	v_add_f64 v[116:117], v[126:127], -v[130:131]
	v_fma_f64 v[252:253], v[107:108], s[8:9], v[0:1]
	v_fma_f64 v[107:108], v[107:108], s[2:3], v[0:1]
	v_add_f64 v[0:1], v[126:127], v[130:131]
	v_fma_f64 v[254:255], v[100:101], s[2:3], v[2:3]
	v_fma_f64 v[109:110], v[100:101], s[8:9], v[2:3]
	v_add_f64 v[2:3], v[128:129], v[132:133]
	ds_store_b128 v194, v[244:247] offset:28800
	ds_store_b128 v194, v[252:255] offset:33600
	ds_store_b128 v194, v[107:110] offset:38400
	v_fma_f64 v[0:1], v[0:1], -0.5, v[8:9]
	v_add_f64 v[8:9], v[8:9], v[126:127]
	v_fma_f64 v[2:3], v[2:3], -0.5, v[10:11]
	v_add_f64 v[10:11], v[10:11], v[128:129]
	s_delay_alu instid0(VALU_DEP_4) | instskip(NEXT) | instid1(VALU_DEP_4)
	v_fma_f64 v[100:101], v[102:103], s[8:9], v[0:1]
	v_add_f64 v[8:9], v[8:9], v[130:131]
	v_fma_f64 v[0:1], v[102:103], s[2:3], v[0:1]
	s_delay_alu instid0(VALU_DEP_4)
	v_add_f64 v[10:11], v[10:11], v[132:133]
	v_fma_f64 v[102:103], v[116:117], s[2:3], v[2:3]
	v_fma_f64 v[2:3], v[116:117], s[8:9], v[2:3]
	ds_store_b128 v193, v[8:11] offset:28800
	ds_store_b128 v193, v[100:103] offset:33600
	;; [unrolled: 1-line block ×3, first 2 shown]
	v_add_co_u32 v0, vcc_lo, 0x3000, v105
	v_add_co_ci_u32_e32 v1, vcc_lo, 0, v106, vcc_lo
	v_add_co_u32 v2, vcc_lo, 0x3810, v105
	v_add_co_ci_u32_e32 v3, vcc_lo, 0, v106, vcc_lo
	s_waitcnt lgkmcnt(0)
	s_barrier
	buffer_gl0_inv
	s_clause 0x1
	global_load_b128 v[4:7], v[0:1], off offset:2064
	global_load_b128 v[12:15], v[2:3], off offset:16
	ds_load_b128 v[216:219], v32 offset:14400
	ds_load_b128 v[0:3], v32 offset:12960
	s_waitcnt vmcnt(1)
	v_mov_b32_e32 v9, v7
	v_dual_mov_b32 v8, v6 :: v_dual_mov_b32 v7, v5
	s_waitcnt vmcnt(0)
	v_dual_mov_b32 v6, v4 :: v_dual_mov_b32 v17, v15
	v_mov_b32_e32 v16, v14
	s_waitcnt lgkmcnt(1)
	v_mul_f64 v[4:5], v[218:219], v[8:9]
	v_mov_b32_e32 v15, v13
	scratch_store_b128 off, v[6:9], off offset:688 ; 16-byte Folded Spill
	v_mov_b32_e32 v14, v12
	v_fma_f64 v[20:21], v[216:217], v[6:7], -v[4:5]
	v_mul_f64 v[4:5], v[216:217], v[8:9]
	s_delay_alu instid0(VALU_DEP_1) | instskip(SKIP_4) | instid1(VALU_DEP_1)
	v_fma_f64 v[22:23], v[218:219], v[6:7], v[4:5]
	ds_load_b128 v[4:7], v32 offset:28800
	ds_load_b128 v[8:11], v32 offset:27360
	s_waitcnt lgkmcnt(1)
	v_mul_f64 v[12:13], v[6:7], v[16:17]
	v_fma_f64 v[24:25], v[4:5], v[14:15], -v[12:13]
	v_mul_f64 v[4:5], v[4:5], v[16:17]
	s_delay_alu instid0(VALU_DEP_1)
	v_fma_f64 v[26:27], v[6:7], v[14:15], v[4:5]
	v_add_co_u32 v4, vcc_lo, 0x3000, v123
	v_add_co_ci_u32_e32 v5, vcc_lo, 0, v53, vcc_lo
	v_add_co_u32 v6, vcc_lo, 0x3810, v123
	v_add_co_ci_u32_e32 v7, vcc_lo, 0, v53, vcc_lo
	s_clause 0x1
	global_load_b128 v[33:36], v[4:5], off offset:2064
	global_load_b128 v[37:40], v[6:7], off offset:16
	scratch_store_b128 off, v[14:17], off offset:672 ; 16-byte Folded Spill
	s_waitcnt vmcnt(1)
	scratch_store_b128 off, v[33:36], off offset:752 ; 16-byte Folded Spill
	s_waitcnt vmcnt(0)
	scratch_store_b128 off, v[37:40], off offset:736 ; 16-byte Folded Spill
	ds_load_b128 v[4:7], v32 offset:15840
	ds_load_b128 v[12:15], v32 offset:17280
	s_waitcnt lgkmcnt(1)
	v_mul_f64 v[16:17], v[6:7], v[35:36]
	s_delay_alu instid0(VALU_DEP_1) | instskip(SKIP_1) | instid1(VALU_DEP_1)
	v_fma_f64 v[28:29], v[4:5], v[33:34], -v[16:17]
	v_mul_f64 v[4:5], v[4:5], v[35:36]
	v_fma_f64 v[30:31], v[6:7], v[33:34], v[4:5]
	ds_load_b128 v[4:7], v32 offset:30240
	ds_load_b128 v[16:19], v32 offset:31680
	s_waitcnt lgkmcnt(1)
	v_mul_f64 v[33:34], v[6:7], v[39:40]
	s_delay_alu instid0(VALU_DEP_1) | instskip(SKIP_1) | instid1(VALU_DEP_1)
	v_fma_f64 v[33:34], v[4:5], v[37:38], -v[33:34]
	v_mul_f64 v[4:5], v[4:5], v[39:40]
	v_fma_f64 v[35:36], v[6:7], v[37:38], v[4:5]
	v_add_co_u32 v4, vcc_lo, 0x3000, v98
	v_add_co_ci_u32_e32 v5, vcc_lo, 0, v99, vcc_lo
	v_add_co_u32 v6, vcc_lo, 0x3810, v98
	v_add_co_ci_u32_e32 v7, vcc_lo, 0, v99, vcc_lo
	s_clause 0x1
	global_load_b128 v[45:48], v[4:5], off offset:2064
	global_load_b128 v[41:44], v[6:7], off offset:16
	s_waitcnt vmcnt(1)
	v_mul_f64 v[4:5], v[14:15], v[47:48]
	s_delay_alu instid0(VALU_DEP_1) | instskip(SKIP_1) | instid1(VALU_DEP_1)
	v_fma_f64 v[37:38], v[12:13], v[45:46], -v[4:5]
	v_mul_f64 v[4:5], v[12:13], v[47:48]
	v_fma_f64 v[39:40], v[14:15], v[45:46], v[4:5]
	s_waitcnt vmcnt(0)
	v_mov_b32_e32 v12, v41
	v_dual_mov_b32 v14, v43 :: v_dual_mov_b32 v15, v44
	v_mov_b32_e32 v13, v42
	scratch_store_b128 off, v[45:48], off offset:768 ; 16-byte Folded Spill
	s_waitcnt lgkmcnt(0)
	v_mul_f64 v[4:5], v[18:19], v[14:15]
	scratch_store_b128 off, v[12:15], off offset:784 ; 16-byte Folded Spill
	v_fma_f64 v[41:42], v[16:17], v[12:13], -v[4:5]
	v_mul_f64 v[4:5], v[16:17], v[14:15]
	s_delay_alu instid0(VALU_DEP_1) | instskip(SKIP_1) | instid1(VALU_DEP_1)
	v_fma_f64 v[43:44], v[18:19], v[12:13], v[4:5]
	v_lshlrev_b32_e32 v4, 5, v137
	v_add_co_u32 v6, s28, s10, v4
	s_delay_alu instid0(VALU_DEP_1) | instskip(NEXT) | instid1(VALU_DEP_2)
	v_add_co_ci_u32_e64 v7, null, s11, 0, s28
	v_add_co_u32 v4, vcc_lo, 0x3000, v6
	s_delay_alu instid0(VALU_DEP_2)
	v_add_co_ci_u32_e32 v5, vcc_lo, 0, v7, vcc_lo
	v_add_co_u32 v6, vcc_lo, 0x3810, v6
	v_add_co_ci_u32_e32 v7, vcc_lo, 0, v7, vcc_lo
	s_clause 0x1
	global_load_b128 v[45:48], v[4:5], off offset:2064
	global_load_b128 v[55:58], v[6:7], off offset:16
	s_waitcnt vmcnt(1)
	scratch_store_b128 off, v[45:48], off offset:848 ; 16-byte Folded Spill
	s_waitcnt vmcnt(0)
	scratch_store_b128 off, v[55:58], off offset:832 ; 16-byte Folded Spill
	ds_load_b128 v[4:7], v32 offset:18720
	ds_load_b128 v[12:15], v32 offset:20160
	s_waitcnt lgkmcnt(1)
	v_mul_f64 v[16:17], v[6:7], v[47:48]
	s_delay_alu instid0(VALU_DEP_1) | instskip(SKIP_1) | instid1(VALU_DEP_1)
	v_fma_f64 v[49:50], v[4:5], v[45:46], -v[16:17]
	v_mul_f64 v[4:5], v[4:5], v[47:48]
	v_fma_f64 v[51:52], v[6:7], v[45:46], v[4:5]
	ds_load_b128 v[4:7], v32 offset:33120
	ds_load_b128 v[16:19], v32 offset:34560
	s_waitcnt lgkmcnt(1)
	v_mul_f64 v[45:46], v[6:7], v[57:58]
	s_delay_alu instid0(VALU_DEP_1) | instskip(SKIP_1) | instid1(VALU_DEP_1)
	v_fma_f64 v[53:54], v[4:5], v[55:56], -v[45:46]
	v_mul_f64 v[4:5], v[4:5], v[57:58]
	v_fma_f64 v[55:56], v[6:7], v[55:56], v[4:5]
	scratch_load_b32 v4, off, off offset:864 ; 4-byte Folded Reload
	s_waitcnt vmcnt(0)
	v_lshlrev_b32_e32 v4, 5, v4
	s_delay_alu instid0(VALU_DEP_1) | instskip(NEXT) | instid1(VALU_DEP_1)
	v_add_co_u32 v6, s28, s10, v4
	v_add_co_ci_u32_e64 v7, null, s11, 0, s28
	s_delay_alu instid0(VALU_DEP_2) | instskip(NEXT) | instid1(VALU_DEP_2)
	v_add_co_u32 v4, vcc_lo, 0x3000, v6
	v_add_co_ci_u32_e32 v5, vcc_lo, 0, v7, vcc_lo
	v_add_co_u32 v6, vcc_lo, 0x3810, v6
	v_add_co_ci_u32_e32 v7, vcc_lo, 0, v7, vcc_lo
	s_clause 0x1
	global_load_b128 v[59:62], v[4:5], off offset:2064
	global_load_b128 v[45:48], v[6:7], off offset:16
	s_waitcnt vmcnt(1)
	v_mul_f64 v[4:5], v[14:15], v[61:62]
	scratch_store_b128 off, v[59:62], off offset:864 ; 16-byte Folded Spill
	s_waitcnt vmcnt(0)
	scratch_store_b128 off, v[45:48], off offset:880 ; 16-byte Folded Spill
	v_fma_f64 v[57:58], v[12:13], v[59:60], -v[4:5]
	v_mul_f64 v[4:5], v[12:13], v[61:62]
	s_delay_alu instid0(VALU_DEP_1) | instskip(SKIP_2) | instid1(VALU_DEP_1)
	v_fma_f64 v[59:60], v[14:15], v[59:60], v[4:5]
	s_waitcnt lgkmcnt(0)
	v_mul_f64 v[4:5], v[18:19], v[47:48]
	v_fma_f64 v[61:62], v[16:17], v[45:46], -v[4:5]
	v_mul_f64 v[4:5], v[16:17], v[47:48]
	s_delay_alu instid0(VALU_DEP_1) | instskip(SKIP_3) | instid1(VALU_DEP_1)
	v_fma_f64 v[63:64], v[18:19], v[45:46], v[4:5]
	scratch_load_b32 v4, off, off offset:928 ; 4-byte Folded Reload
	s_waitcnt vmcnt(0)
	v_lshlrev_b32_e32 v4, 5, v4
	v_add_co_u32 v6, s28, s10, v4
	s_delay_alu instid0(VALU_DEP_1) | instskip(NEXT) | instid1(VALU_DEP_2)
	v_add_co_ci_u32_e64 v7, null, s11, 0, s28
	v_add_co_u32 v4, vcc_lo, 0x3000, v6
	s_delay_alu instid0(VALU_DEP_2)
	v_add_co_ci_u32_e32 v5, vcc_lo, 0, v7, vcc_lo
	v_add_co_u32 v6, vcc_lo, 0x3810, v6
	v_add_co_ci_u32_e32 v7, vcc_lo, 0, v7, vcc_lo
	s_clause 0x1
	global_load_b128 v[45:48], v[4:5], off offset:2064
	global_load_b128 v[65:68], v[6:7], off offset:16
	s_waitcnt vmcnt(1)
	scratch_store_b128 off, v[45:48], off offset:944 ; 16-byte Folded Spill
	s_waitcnt vmcnt(0)
	scratch_store_b128 off, v[65:68], off offset:928 ; 16-byte Folded Spill
	ds_load_b128 v[4:7], v32 offset:21600
	ds_load_b128 v[12:15], v32 offset:23040
	s_waitcnt lgkmcnt(1)
	v_mul_f64 v[16:17], v[6:7], v[47:48]
	s_delay_alu instid0(VALU_DEP_1) | instskip(SKIP_1) | instid1(VALU_DEP_1)
	v_fma_f64 v[73:74], v[4:5], v[45:46], -v[16:17]
	v_mul_f64 v[4:5], v[4:5], v[47:48]
	v_fma_f64 v[75:76], v[6:7], v[45:46], v[4:5]
	ds_load_b128 v[4:7], v32 offset:36000
	ds_load_b128 v[16:19], v32 offset:37440
	s_waitcnt lgkmcnt(1)
	v_mul_f64 v[45:46], v[6:7], v[67:68]
	s_delay_alu instid0(VALU_DEP_1) | instskip(SKIP_1) | instid1(VALU_DEP_1)
	v_fma_f64 v[77:78], v[4:5], v[65:66], -v[45:46]
	v_mul_f64 v[4:5], v[4:5], v[67:68]
	v_fma_f64 v[79:80], v[6:7], v[65:66], v[4:5]
	v_lshlrev_b32_e32 v4, 5, v141
	s_delay_alu instid0(VALU_DEP_1) | instskip(NEXT) | instid1(VALU_DEP_1)
	v_add_co_u32 v6, s28, s10, v4
	v_add_co_ci_u32_e64 v7, null, s11, 0, s28
	s_delay_alu instid0(VALU_DEP_2) | instskip(NEXT) | instid1(VALU_DEP_2)
	v_add_co_u32 v4, vcc_lo, 0x3000, v6
	v_add_co_ci_u32_e32 v5, vcc_lo, 0, v7, vcc_lo
	v_add_co_u32 v6, vcc_lo, 0x3810, v6
	v_add_co_ci_u32_e32 v7, vcc_lo, 0, v7, vcc_lo
	s_clause 0x1
	global_load_b128 v[65:68], v[4:5], off offset:2064
	global_load_b128 v[45:48], v[6:7], off offset:16
	s_waitcnt vmcnt(1)
	v_mul_f64 v[4:5], v[14:15], v[67:68]
	scratch_store_b128 off, v[65:68], off offset:960 ; 16-byte Folded Spill
	s_waitcnt vmcnt(0)
	scratch_store_b128 off, v[45:48], off offset:976 ; 16-byte Folded Spill
	v_fma_f64 v[81:82], v[12:13], v[65:66], -v[4:5]
	v_mul_f64 v[4:5], v[12:13], v[67:68]
	s_delay_alu instid0(VALU_DEP_1) | instskip(SKIP_2) | instid1(VALU_DEP_1)
	v_fma_f64 v[83:84], v[14:15], v[65:66], v[4:5]
	s_waitcnt lgkmcnt(0)
	v_mul_f64 v[4:5], v[18:19], v[47:48]
	v_fma_f64 v[85:86], v[16:17], v[45:46], -v[4:5]
	v_mul_f64 v[4:5], v[16:17], v[47:48]
	s_delay_alu instid0(VALU_DEP_1) | instskip(SKIP_1) | instid1(VALU_DEP_1)
	v_fma_f64 v[87:88], v[18:19], v[45:46], v[4:5]
	v_lshlrev_b32_e32 v4, 5, v140
	v_add_co_u32 v6, s28, s10, v4
	s_delay_alu instid0(VALU_DEP_1) | instskip(NEXT) | instid1(VALU_DEP_2)
	v_add_co_ci_u32_e64 v7, null, s11, 0, s28
	v_add_co_u32 v4, vcc_lo, 0x3000, v6
	s_delay_alu instid0(VALU_DEP_2)
	v_add_co_ci_u32_e32 v5, vcc_lo, 0, v7, vcc_lo
	v_add_co_u32 v6, vcc_lo, 0x3810, v6
	v_add_co_ci_u32_e32 v7, vcc_lo, 0, v7, vcc_lo
	s_clause 0x1
	global_load_b128 v[45:48], v[4:5], off offset:2064
	global_load_b128 v[65:68], v[6:7], off offset:16
	s_waitcnt vmcnt(1)
	scratch_store_b128 off, v[45:48], off offset:1040 ; 16-byte Folded Spill
	s_waitcnt vmcnt(0)
	scratch_store_b128 off, v[65:68], off offset:1024 ; 16-byte Folded Spill
	ds_load_b128 v[4:7], v32 offset:24480
	ds_load_b128 v[12:15], v32 offset:25920
	s_waitcnt lgkmcnt(1)
	v_mul_f64 v[16:17], v[6:7], v[47:48]
	s_delay_alu instid0(VALU_DEP_1) | instskip(SKIP_1) | instid1(VALU_DEP_1)
	v_fma_f64 v[97:98], v[4:5], v[45:46], -v[16:17]
	v_mul_f64 v[4:5], v[4:5], v[47:48]
	v_fma_f64 v[99:100], v[6:7], v[45:46], v[4:5]
	ds_load_b128 v[4:7], v32 offset:38880
	ds_load_b128 v[16:19], v32 offset:40320
	s_waitcnt lgkmcnt(1)
	v_mul_f64 v[45:46], v[6:7], v[67:68]
	s_delay_alu instid0(VALU_DEP_1) | instskip(SKIP_1) | instid1(VALU_DEP_1)
	v_fma_f64 v[101:102], v[4:5], v[65:66], -v[45:46]
	v_mul_f64 v[4:5], v[4:5], v[67:68]
	v_fma_f64 v[103:104], v[6:7], v[65:66], v[4:5]
	v_lshlrev_b32_e32 v4, 5, v139
	s_delay_alu instid0(VALU_DEP_1) | instskip(NEXT) | instid1(VALU_DEP_1)
	v_add_co_u32 v6, s28, s10, v4
	v_add_co_ci_u32_e64 v7, null, s11, 0, s28
	s_delay_alu instid0(VALU_DEP_2) | instskip(NEXT) | instid1(VALU_DEP_2)
	v_add_co_u32 v4, vcc_lo, 0x3000, v6
	v_add_co_ci_u32_e32 v5, vcc_lo, 0, v7, vcc_lo
	v_add_co_u32 v6, vcc_lo, 0x3810, v6
	v_add_co_ci_u32_e32 v7, vcc_lo, 0, v7, vcc_lo
	s_clause 0x1
	global_load_b128 v[252:255], v[4:5], off offset:2064
	global_load_b128 v[45:48], v[6:7], off offset:16
	s_waitcnt vmcnt(1)
	v_mul_f64 v[4:5], v[14:15], v[254:255]
	s_waitcnt vmcnt(0)
	scratch_store_b128 off, v[45:48], off offset:1072 ; 16-byte Folded Spill
	v_fma_f64 v[105:106], v[12:13], v[252:253], -v[4:5]
	v_mul_f64 v[4:5], v[12:13], v[254:255]
	s_delay_alu instid0(VALU_DEP_1) | instskip(SKIP_2) | instid1(VALU_DEP_1)
	v_fma_f64 v[107:108], v[14:15], v[252:253], v[4:5]
	s_waitcnt lgkmcnt(0)
	v_mul_f64 v[4:5], v[18:19], v[47:48]
	v_fma_f64 v[109:110], v[16:17], v[45:46], -v[4:5]
	v_mul_f64 v[4:5], v[16:17], v[47:48]
	s_delay_alu instid0(VALU_DEP_1) | instskip(SKIP_1) | instid1(VALU_DEP_1)
	v_fma_f64 v[111:112], v[18:19], v[45:46], v[4:5]
	v_lshlrev_b32_e32 v4, 5, v138
	v_add_co_u32 v6, s10, s10, v4
	s_delay_alu instid0(VALU_DEP_1) | instskip(NEXT) | instid1(VALU_DEP_2)
	v_add_co_ci_u32_e64 v7, null, s11, 0, s10
	v_add_co_u32 v4, vcc_lo, 0x3000, v6
	s_delay_alu instid0(VALU_DEP_2)
	v_add_co_ci_u32_e32 v5, vcc_lo, 0, v7, vcc_lo
	v_add_co_u32 v6, vcc_lo, 0x3810, v6
	v_add_co_ci_u32_e32 v7, vcc_lo, 0, v7, vcc_lo
	s_clause 0x1
	global_load_b128 v[216:219], v[4:5], off offset:2064
	global_load_b128 v[244:247], v[6:7], off offset:16
	s_waitcnt vmcnt(1)
	v_mul_f64 v[4:5], v[10:11], v[218:219]
	s_delay_alu instid0(VALU_DEP_1) | instskip(SKIP_1) | instid1(VALU_DEP_1)
	v_fma_f64 v[117:118], v[8:9], v[216:217], -v[4:5]
	v_mul_f64 v[4:5], v[8:9], v[218:219]
	v_fma_f64 v[119:120], v[10:11], v[216:217], v[4:5]
	ds_load_b128 v[4:7], v32 offset:41760
	ds_load_b128 v[8:11], v32
	s_waitcnt vmcnt(0) lgkmcnt(1)
	v_mul_f64 v[12:13], v[6:7], v[246:247]
	s_delay_alu instid0(VALU_DEP_1) | instskip(SKIP_1) | instid1(VALU_DEP_1)
	v_fma_f64 v[121:122], v[4:5], v[244:245], -v[12:13]
	v_mul_f64 v[4:5], v[4:5], v[246:247]
	v_fma_f64 v[123:124], v[6:7], v[244:245], v[4:5]
	v_add_f64 v[4:5], v[20:21], v[24:25]
	s_delay_alu instid0(VALU_DEP_2) | instskip(SKIP_1) | instid1(VALU_DEP_2)
	v_add_f64 v[125:126], v[119:120], -v[123:124]
	s_waitcnt lgkmcnt(0)
	v_fma_f64 v[12:13], v[4:5], -0.5, v[8:9]
	v_add_f64 v[4:5], v[22:23], v[26:27]
	v_add_f64 v[8:9], v[8:9], v[20:21]
	s_delay_alu instid0(VALU_DEP_2) | instskip(SKIP_2) | instid1(VALU_DEP_2)
	v_fma_f64 v[14:15], v[4:5], -0.5, v[10:11]
	v_add_f64 v[4:5], v[10:11], v[22:23]
	v_add_f64 v[10:11], v[22:23], -v[26:27]
	v_add_f64 v[6:7], v[4:5], v[26:27]
	v_add_f64 v[4:5], v[8:9], v[24:25]
	v_add_f64 v[8:9], v[20:21], -v[24:25]
	s_delay_alu instid0(VALU_DEP_4)
	v_fma_f64 v[113:114], v[10:11], s[8:9], v[12:13]
	v_fma_f64 v[12:13], v[10:11], s[2:3], v[12:13]
	v_add_f64 v[10:11], v[30:31], v[35:36]
	ds_load_b128 v[16:19], v32 offset:1440
	ds_load_b128 v[20:23], v32 offset:2880
	v_add_f64 v[26:27], v[30:31], -v[35:36]
	v_fma_f64 v[115:116], v[8:9], s[2:3], v[14:15]
	v_fma_f64 v[14:15], v[8:9], s[8:9], v[14:15]
	v_add_f64 v[8:9], v[28:29], v[33:34]
	s_waitcnt lgkmcnt(1)
	v_fma_f64 v[10:11], v[10:11], -0.5, v[18:19]
	v_add_f64 v[18:19], v[18:19], v[30:31]
	v_add_f64 v[30:31], v[28:29], -v[33:34]
	s_delay_alu instid0(VALU_DEP_4) | instskip(SKIP_1) | instid1(VALU_DEP_4)
	v_fma_f64 v[8:9], v[8:9], -0.5, v[16:17]
	v_add_f64 v[16:17], v[16:17], v[28:29]
	v_add_f64 v[18:19], v[18:19], v[35:36]
	v_add_f64 v[35:36], v[39:40], -v[43:44]
	s_delay_alu instid0(VALU_DEP_4)
	v_fma_f64 v[24:25], v[26:27], s[8:9], v[8:9]
	v_fma_f64 v[28:29], v[26:27], s[2:3], v[8:9]
	v_fma_f64 v[26:27], v[30:31], s[2:3], v[10:11]
	v_fma_f64 v[30:31], v[30:31], s[8:9], v[10:11]
	v_add_f64 v[8:9], v[37:38], v[41:42]
	v_add_f64 v[10:11], v[39:40], v[43:44]
	;; [unrolled: 1-line block ×3, first 2 shown]
	s_waitcnt lgkmcnt(0)
	s_delay_alu instid0(VALU_DEP_3) | instskip(NEXT) | instid1(VALU_DEP_3)
	v_fma_f64 v[8:9], v[8:9], -0.5, v[20:21]
	v_fma_f64 v[10:11], v[10:11], -0.5, v[22:23]
	v_add_f64 v[22:23], v[22:23], v[39:40]
	v_add_f64 v[39:40], v[37:38], -v[41:42]
	v_add_f64 v[20:21], v[20:21], v[37:38]
	v_fma_f64 v[33:34], v[35:36], s[8:9], v[8:9]
	v_fma_f64 v[37:38], v[35:36], s[2:3], v[8:9]
	v_add_f64 v[22:23], v[22:23], v[43:44]
	v_fma_f64 v[35:36], v[39:40], s[2:3], v[10:11]
	v_fma_f64 v[39:40], v[39:40], s[8:9], v[10:11]
	v_add_f64 v[10:11], v[51:52], v[55:56]
	v_add_f64 v[20:21], v[20:21], v[41:42]
	ds_load_b128 v[41:44], v32 offset:4320
	ds_load_b128 v[45:48], v32 offset:5760
	v_add_f64 v[8:9], v[49:50], v[53:54]
	ds_load_b128 v[65:68], v32 offset:7200
	ds_load_b128 v[69:72], v32 offset:8640
	;; [unrolled: 1-line block ×4, first 2 shown]
	s_waitcnt lgkmcnt(5)
	v_fma_f64 v[10:11], v[10:11], -0.5, v[43:44]
	v_add_f64 v[43:44], v[43:44], v[51:52]
	v_add_f64 v[51:52], v[51:52], -v[55:56]
	v_fma_f64 v[8:9], v[8:9], -0.5, v[41:42]
	v_add_f64 v[41:42], v[41:42], v[49:50]
	s_delay_alu instid0(VALU_DEP_4) | instskip(SKIP_1) | instid1(VALU_DEP_4)
	v_add_f64 v[43:44], v[43:44], v[55:56]
	v_add_f64 v[55:56], v[49:50], -v[53:54]
	v_fma_f64 v[49:50], v[51:52], s[8:9], v[8:9]
	s_delay_alu instid0(VALU_DEP_4)
	v_add_f64 v[41:42], v[41:42], v[53:54]
	v_fma_f64 v[53:54], v[51:52], s[2:3], v[8:9]
	v_add_f64 v[8:9], v[57:58], v[61:62]
	v_fma_f64 v[51:52], v[55:56], s[2:3], v[10:11]
	v_fma_f64 v[55:56], v[55:56], s[8:9], v[10:11]
	v_add_f64 v[10:11], v[59:60], v[63:64]
	s_waitcnt lgkmcnt(4)
	s_delay_alu instid0(VALU_DEP_4) | instskip(SKIP_1) | instid1(VALU_DEP_3)
	v_fma_f64 v[8:9], v[8:9], -0.5, v[45:46]
	v_add_f64 v[45:46], v[45:46], v[57:58]
	v_fma_f64 v[10:11], v[10:11], -0.5, v[47:48]
	v_add_f64 v[47:48], v[47:48], v[59:60]
	v_add_f64 v[59:60], v[59:60], -v[63:64]
	s_delay_alu instid0(VALU_DEP_4) | instskip(NEXT) | instid1(VALU_DEP_3)
	v_add_f64 v[45:46], v[45:46], v[61:62]
	v_add_f64 v[47:48], v[47:48], v[63:64]
	v_add_f64 v[63:64], v[57:58], -v[61:62]
	s_delay_alu instid0(VALU_DEP_4) | instskip(SKIP_2) | instid1(VALU_DEP_4)
	v_fma_f64 v[57:58], v[59:60], s[8:9], v[8:9]
	v_fma_f64 v[61:62], v[59:60], s[2:3], v[8:9]
	v_add_f64 v[8:9], v[73:74], v[77:78]
	v_fma_f64 v[59:60], v[63:64], s[2:3], v[10:11]
	v_fma_f64 v[63:64], v[63:64], s[8:9], v[10:11]
	v_add_f64 v[10:11], v[75:76], v[79:80]
	s_waitcnt lgkmcnt(3)
	s_delay_alu instid0(VALU_DEP_4) | instskip(SKIP_1) | instid1(VALU_DEP_3)
	v_fma_f64 v[8:9], v[8:9], -0.5, v[65:66]
	v_add_f64 v[65:66], v[65:66], v[73:74]
	v_fma_f64 v[10:11], v[10:11], -0.5, v[67:68]
	v_add_f64 v[67:68], v[67:68], v[75:76]
	v_add_f64 v[75:76], v[75:76], -v[79:80]
	s_delay_alu instid0(VALU_DEP_4) | instskip(NEXT) | instid1(VALU_DEP_3)
	v_add_f64 v[65:66], v[65:66], v[77:78]
	v_add_f64 v[67:68], v[67:68], v[79:80]
	v_add_f64 v[79:80], v[73:74], -v[77:78]
	s_delay_alu instid0(VALU_DEP_4) | instskip(SKIP_2) | instid1(VALU_DEP_4)
	v_fma_f64 v[73:74], v[75:76], s[8:9], v[8:9]
	;; [unrolled: 18-line block ×5, first 2 shown]
	v_fma_f64 v[109:110], v[107:108], s[2:3], v[8:9]
	v_add_f64 v[8:9], v[117:118], v[121:122]
	v_fma_f64 v[107:108], v[111:112], s[2:3], v[10:11]
	v_fma_f64 v[111:112], v[111:112], s[8:9], v[10:11]
	v_add_f64 v[10:11], v[119:120], v[123:124]
	s_delay_alu instid0(VALU_DEP_4) | instskip(SKIP_2) | instid1(VALU_DEP_4)
	v_fma_f64 v[8:9], v[8:9], -0.5, v[0:1]
	v_add_f64 v[0:1], v[0:1], v[117:118]
	v_add_f64 v[117:118], v[117:118], -v[121:122]
	v_fma_f64 v[10:11], v[10:11], -0.5, v[2:3]
	v_add_f64 v[2:3], v[2:3], v[119:120]
	s_delay_alu instid0(VALU_DEP_4) | instskip(SKIP_2) | instid1(VALU_DEP_4)
	v_add_f64 v[0:1], v[0:1], v[121:122]
	v_fma_f64 v[120:121], v[125:126], s[8:9], v[8:9]
	v_fma_f64 v[8:9], v[125:126], s[2:3], v[8:9]
	v_add_f64 v[2:3], v[2:3], v[123:124]
	v_fma_f64 v[122:123], v[117:118], s[2:3], v[10:11]
	v_fma_f64 v[10:11], v[117:118], s[8:9], v[10:11]
	ds_store_b128 v32, v[4:7]
	ds_store_b128 v32, v[16:19] offset:1440
	ds_store_b128 v32, v[20:23] offset:2880
	;; [unrolled: 1-line block ×29, first 2 shown]
	scratch_load_b32 v16, off, off offset:488 ; 4-byte Folded Reload
	s_waitcnt vmcnt(0) lgkmcnt(0)
	s_waitcnt_vscnt null, 0x0
	s_barrier
	buffer_gl0_inv
	scratch_load_b64 v[0:1], off, off offset:492 ; 8-byte Folded Reload
	ds_load_b128 v[4:7], v32
	ds_load_b128 v[121:124], v32 offset:41760
	v_add_co_u32 v12, vcc_lo, 0xa8c0, v243
	v_add_co_ci_u32_e32 v13, vcc_lo, 0, v16, vcc_lo
	s_waitcnt vmcnt(0)
	s_clause 0x1
	global_load_b128 v[0:3], v[0:1], off offset:2240
	global_load_b128 v[8:11], v[12:13], off offset:1440
	s_waitcnt vmcnt(1) lgkmcnt(1)
	v_mul_f64 v[14:15], v[6:7], v[2:3]
	v_mul_f64 v[2:3], v[4:5], v[2:3]
	s_delay_alu instid0(VALU_DEP_2) | instskip(NEXT) | instid1(VALU_DEP_2)
	v_fma_f64 v[137:138], v[4:5], v[0:1], -v[14:15]
	v_fma_f64 v[139:140], v[6:7], v[0:1], v[2:3]
	v_mov_b32_e32 v6, v16
	v_add_co_u32 v0, vcc_lo, 0xe000, v243
	s_delay_alu instid0(VALU_DEP_2)
	v_add_co_ci_u32_e32 v1, vcc_lo, 0, v6, vcc_lo
	s_clause 0x1
	global_load_b128 v[16:19], v[12:13], off offset:2880
	global_load_b128 v[20:23], v[0:1], off offset:256
	ds_load_b128 v[24:27], v32 offset:14400
	ds_load_b128 v[28:31], v32 offset:12960
	;; [unrolled: 1-line block ×4, first 2 shown]
	v_mov_b32_e32 v141, v6
	s_waitcnt vmcnt(0) lgkmcnt(3)
	v_mul_f64 v[2:3], v[26:27], v[22:23]
	v_mul_f64 v[4:5], v[24:25], v[22:23]
	s_delay_alu instid0(VALU_DEP_2) | instskip(SKIP_2) | instid1(VALU_DEP_4)
	v_fma_f64 v[133:134], v[24:25], v[20:21], -v[2:3]
	v_add_co_u32 v2, vcc_lo, 0x11000, v243
	v_add_co_ci_u32_e32 v3, vcc_lo, 0, v6, vcc_lo
	v_fma_f64 v[135:136], v[26:27], v[20:21], v[4:5]
	s_clause 0x1
	global_load_b128 v[33:36], v[2:3], off offset:2368
	global_load_b128 v[41:44], v[2:3], off offset:928
	ds_load_b128 v[49:52], v32 offset:1440
	ds_load_b128 v[53:56], v32 offset:2880
	s_waitcnt vmcnt(1) lgkmcnt(3)
	v_mul_f64 v[4:5], v[39:40], v[35:36]
	v_mul_f64 v[6:7], v[37:38], v[35:36]
	s_delay_alu instid0(VALU_DEP_2) | instskip(NEXT) | instid1(VALU_DEP_2)
	v_fma_f64 v[129:130], v[37:38], v[33:34], -v[4:5]
	v_fma_f64 v[131:132], v[39:40], v[33:34], v[6:7]
	s_waitcnt lgkmcnt(1)
	v_mul_f64 v[4:5], v[51:52], v[10:11]
	v_mul_f64 v[6:7], v[49:50], v[10:11]
	s_delay_alu instid0(VALU_DEP_2) | instskip(NEXT) | instid1(VALU_DEP_2)
	v_fma_f64 v[37:38], v[49:50], v[8:9], -v[4:5]
	v_fma_f64 v[39:40], v[51:52], v[8:9], v[6:7]
	s_clause 0x1
	global_load_b128 v[49:52], v[0:1], off offset:1696
	global_load_b128 v[57:60], v[0:1], off offset:3136
	ds_load_b128 v[61:64], v32 offset:15840
	ds_load_b128 v[65:68], v32 offset:17280
	s_waitcnt vmcnt(1) lgkmcnt(1)
	v_mul_f64 v[0:1], v[63:64], v[51:52]
	v_mul_f64 v[4:5], v[61:62], v[51:52]
	s_delay_alu instid0(VALU_DEP_2) | instskip(SKIP_2) | instid1(VALU_DEP_4)
	v_fma_f64 v[61:62], v[61:62], v[49:50], -v[0:1]
	v_add_co_u32 v0, vcc_lo, 0x12000, v243
	v_add_co_ci_u32_e32 v1, vcc_lo, 0, v141, vcc_lo
	v_fma_f64 v[63:64], v[63:64], v[49:50], v[4:5]
	s_clause 0x1
	global_load_b128 v[49:52], v[2:3], off offset:3808
	global_load_b128 v[69:72], v[0:1], off offset:1152
	ds_load_b128 v[73:76], v32 offset:30240
	ds_load_b128 v[77:80], v32 offset:31680
	s_waitcnt vmcnt(1) lgkmcnt(1)
	v_mul_f64 v[2:3], v[75:76], v[51:52]
	v_mul_f64 v[4:5], v[73:74], v[51:52]
	s_delay_alu instid0(VALU_DEP_2) | instskip(SKIP_1) | instid1(VALU_DEP_3)
	v_fma_f64 v[73:74], v[73:74], v[49:50], -v[2:3]
	v_mul_f64 v[2:3], v[55:56], v[18:19]
	v_fma_f64 v[75:76], v[75:76], v[49:50], v[4:5]
	v_mul_f64 v[4:5], v[53:54], v[18:19]
	s_delay_alu instid0(VALU_DEP_3) | instskip(SKIP_1) | instid1(VALU_DEP_3)
	v_fma_f64 v[33:34], v[53:54], v[16:17], -v[2:3]
	v_mul_f64 v[2:3], v[67:68], v[59:60]
	v_fma_f64 v[35:36], v[55:56], v[16:17], v[4:5]
	v_mul_f64 v[4:5], v[65:66], v[59:60]
	s_delay_alu instid0(VALU_DEP_3) | instskip(SKIP_2) | instid1(VALU_DEP_3)
	v_fma_f64 v[49:50], v[65:66], v[57:58], -v[2:3]
	s_waitcnt vmcnt(0) lgkmcnt(0)
	v_mul_f64 v[2:3], v[79:80], v[71:72]
	v_fma_f64 v[51:52], v[67:68], v[57:58], v[4:5]
	v_mul_f64 v[4:5], v[77:78], v[71:72]
	s_delay_alu instid0(VALU_DEP_3)
	v_fma_f64 v[53:54], v[77:78], v[69:70], -v[2:3]
	v_add_co_u32 v2, vcc_lo, 0xb000, v243
	v_add_co_ci_u32_e32 v3, vcc_lo, 0, v141, vcc_lo
	s_clause 0x1
	global_load_b128 v[57:60], v[2:3], off offset:2464
	global_load_b128 v[65:68], v[2:3], off offset:3904
	v_fma_f64 v[55:56], v[79:80], v[69:70], v[4:5]
	ds_load_b128 v[69:72], v32 offset:4320
	ds_load_b128 v[77:80], v32 offset:5760
	;; [unrolled: 1-line block ×4, first 2 shown]
	s_waitcnt vmcnt(1) lgkmcnt(3)
	v_mul_f64 v[2:3], v[71:72], v[59:60]
	v_mul_f64 v[4:5], v[69:70], v[59:60]
	s_delay_alu instid0(VALU_DEP_2) | instskip(SKIP_2) | instid1(VALU_DEP_4)
	v_fma_f64 v[69:70], v[69:70], v[57:58], -v[2:3]
	v_add_co_u32 v2, vcc_lo, 0xf000, v243
	v_add_co_ci_u32_e32 v3, vcc_lo, 0, v141, vcc_lo
	v_fma_f64 v[71:72], v[71:72], v[57:58], v[4:5]
	s_clause 0x1
	global_load_b128 v[57:60], v[2:3], off offset:480
	global_load_b128 v[85:88], v[2:3], off offset:1920
	s_waitcnt vmcnt(1) lgkmcnt(1)
	v_mul_f64 v[4:5], v[83:84], v[59:60]
	v_mul_f64 v[6:7], v[81:82], v[59:60]
	s_delay_alu instid0(VALU_DEP_2) | instskip(NEXT) | instid1(VALU_DEP_2)
	v_fma_f64 v[81:82], v[81:82], v[57:58], -v[4:5]
	v_fma_f64 v[83:84], v[83:84], v[57:58], v[6:7]
	s_clause 0x1
	global_load_b128 v[57:60], v[0:1], off offset:2592
	global_load_b128 v[93:96], v[0:1], off offset:4032
	ds_load_b128 v[97:100], v32 offset:33120
	ds_load_b128 v[101:104], v32 offset:34560
	s_waitcnt vmcnt(1) lgkmcnt(1)
	v_mul_f64 v[0:1], v[99:100], v[59:60]
	v_mul_f64 v[4:5], v[97:98], v[59:60]
	s_delay_alu instid0(VALU_DEP_2) | instskip(SKIP_1) | instid1(VALU_DEP_3)
	v_fma_f64 v[97:98], v[97:98], v[57:58], -v[0:1]
	v_mul_f64 v[0:1], v[79:80], v[67:68]
	v_fma_f64 v[99:100], v[99:100], v[57:58], v[4:5]
	v_mul_f64 v[4:5], v[77:78], v[67:68]
	s_delay_alu instid0(VALU_DEP_3) | instskip(SKIP_1) | instid1(VALU_DEP_3)
	v_fma_f64 v[57:58], v[77:78], v[65:66], -v[0:1]
	v_mul_f64 v[0:1], v[91:92], v[87:88]
	v_fma_f64 v[59:60], v[79:80], v[65:66], v[4:5]
	v_mul_f64 v[4:5], v[89:90], v[87:88]
	s_delay_alu instid0(VALU_DEP_3) | instskip(SKIP_2) | instid1(VALU_DEP_3)
	v_fma_f64 v[65:66], v[89:90], v[85:86], -v[0:1]
	s_waitcnt vmcnt(0) lgkmcnt(0)
	v_mul_f64 v[0:1], v[103:104], v[95:96]
	v_fma_f64 v[67:68], v[91:92], v[85:86], v[4:5]
	v_mul_f64 v[4:5], v[101:102], v[95:96]
	s_delay_alu instid0(VALU_DEP_3)
	v_fma_f64 v[77:78], v[101:102], v[93:94], -v[0:1]
	v_add_co_u32 v0, vcc_lo, 0xc000, v243
	v_add_co_ci_u32_e32 v1, vcc_lo, 0, v141, vcc_lo
	s_clause 0x1
	global_load_b128 v[85:88], v[2:3], off offset:3360
	global_load_b128 v[89:92], v[0:1], off offset:1248
	v_fma_f64 v[79:80], v[103:104], v[93:94], v[4:5]
	ds_load_b128 v[93:96], v32 offset:7200
	ds_load_b128 v[101:104], v32 offset:8640
	;; [unrolled: 1-line block ×4, first 2 shown]
	s_waitcnt vmcnt(0) lgkmcnt(3)
	v_mul_f64 v[2:3], v[95:96], v[91:92]
	v_mul_f64 v[4:5], v[93:94], v[91:92]
	s_delay_alu instid0(VALU_DEP_2) | instskip(NEXT) | instid1(VALU_DEP_2)
	v_fma_f64 v[91:92], v[93:94], v[89:90], -v[2:3]
	v_fma_f64 v[93:94], v[95:96], v[89:90], v[4:5]
	s_waitcnt lgkmcnt(1)
	v_mul_f64 v[4:5], v[105:106], v[87:88]
	v_mul_f64 v[2:3], v[107:108], v[87:88]
	s_delay_alu instid0(VALU_DEP_2) | instskip(SKIP_2) | instid1(VALU_DEP_4)
	v_fma_f64 v[89:90], v[107:108], v[85:86], v[4:5]
	v_add_co_u32 v4, vcc_lo, 0x13000, v243
	v_add_co_ci_u32_e32 v5, vcc_lo, 0, v141, vcc_lo
	v_fma_f64 v[87:88], v[105:106], v[85:86], -v[2:3]
	s_clause 0x1
	global_load_b128 v[105:108], v[0:1], off offset:2688
	global_load_b128 v[113:116], v[4:5], off offset:1376
	ds_load_b128 v[117:120], v32 offset:36000
	ds_load_b128 v[0:3], v32 offset:37440
	s_waitcnt vmcnt(0) lgkmcnt(1)
	v_mul_f64 v[6:7], v[119:120], v[115:116]
	v_mul_f64 v[8:9], v[117:118], v[115:116]
	s_delay_alu instid0(VALU_DEP_2) | instskip(SKIP_1) | instid1(VALU_DEP_3)
	v_fma_f64 v[115:116], v[117:118], v[113:114], -v[6:7]
	v_mul_f64 v[6:7], v[103:104], v[107:108]
	v_fma_f64 v[117:118], v[119:120], v[113:114], v[8:9]
	v_mul_f64 v[8:9], v[101:102], v[107:108]
	s_delay_alu instid0(VALU_DEP_3) | instskip(SKIP_2) | instid1(VALU_DEP_4)
	v_fma_f64 v[101:102], v[101:102], v[105:106], -v[6:7]
	v_add_co_u32 v6, vcc_lo, 0x10000, v243
	v_add_co_ci_u32_e32 v7, vcc_lo, 0, v141, vcc_lo
	v_fma_f64 v[103:104], v[103:104], v[105:106], v[8:9]
	s_clause 0x1
	global_load_b128 v[105:108], v[4:5], off offset:2816
	global_load_b128 v[125:128], v[6:7], off offset:704
	ds_load_b128 v[12:15], v32 offset:11520
	s_waitcnt vmcnt(0)
	v_mul_f64 v[4:5], v[111:112], v[127:128]
	v_mul_f64 v[8:9], v[109:110], v[127:128]
	s_delay_alu instid0(VALU_DEP_2) | instskip(SKIP_2) | instid1(VALU_DEP_3)
	v_fma_f64 v[109:110], v[109:110], v[125:126], -v[4:5]
	s_waitcnt lgkmcnt(1)
	v_mul_f64 v[4:5], v[2:3], v[107:108]
	v_fma_f64 v[111:112], v[111:112], v[125:126], v[8:9]
	v_mul_f64 v[8:9], v[0:1], v[107:108]
	ds_load_b128 v[125:128], v32 offset:10080
	v_fma_f64 v[24:25], v[0:1], v[105:106], -v[4:5]
	v_add_co_u32 v4, vcc_lo, 0xd000, v243
	v_add_co_ci_u32_e32 v5, vcc_lo, 0, v141, vcc_lo
	v_fma_f64 v[26:27], v[2:3], v[105:106], v[8:9]
	v_add_co_u32 v85, vcc_lo, 0x14000, v243
	s_clause 0x1
	global_load_b128 v[105:108], v[4:5], off offset:32
	global_load_b128 v[16:19], v[4:5], off offset:1472
	v_add_co_ci_u32_e32 v86, vcc_lo, 0, v141, vcc_lo
	s_waitcnt vmcnt(1) lgkmcnt(0)
	v_mul_f64 v[0:1], v[127:128], v[107:108]
	v_mul_f64 v[2:3], v[125:126], v[107:108]
	s_delay_alu instid0(VALU_DEP_2) | instskip(NEXT) | instid1(VALU_DEP_2)
	v_fma_f64 v[125:126], v[125:126], v[105:106], -v[0:1]
	v_fma_f64 v[127:128], v[127:128], v[105:106], v[2:3]
	s_clause 0x1
	global_load_b128 v[105:108], v[6:7], off offset:2144
	global_load_b128 v[145:148], v[6:7], off offset:3584
	ds_load_b128 v[0:3], v32 offset:24480
	ds_load_b128 v[8:11], v32 offset:25920
	s_waitcnt vmcnt(1) lgkmcnt(1)
	v_mul_f64 v[6:7], v[2:3], v[107:108]
	v_mul_f64 v[22:23], v[0:1], v[107:108]
	s_delay_alu instid0(VALU_DEP_2) | instskip(NEXT) | instid1(VALU_DEP_2)
	v_fma_f64 v[20:21], v[0:1], v[105:106], -v[6:7]
	v_fma_f64 v[22:23], v[2:3], v[105:106], v[22:23]
	s_clause 0x1
	global_load_b128 v[105:108], v[4:5], off offset:2912
	global_load_b128 v[154:157], v[85:86], off offset:160
	ds_load_b128 v[0:3], v32 offset:38880
	ds_load_b128 v[4:7], v32 offset:40320
	s_waitcnt vmcnt(0) lgkmcnt(1)
	v_mul_f64 v[95:96], v[2:3], v[156:157]
	v_mul_f64 v[113:114], v[0:1], v[156:157]
	s_delay_alu instid0(VALU_DEP_2) | instskip(SKIP_2) | instid1(VALU_DEP_4)
	v_fma_f64 v[0:1], v[0:1], v[154:155], -v[95:96]
	v_mul_f64 v[95:96], v[14:15], v[18:19]
	v_mul_f64 v[18:19], v[12:13], v[18:19]
	v_fma_f64 v[2:3], v[2:3], v[154:155], v[113:114]
	s_delay_alu instid0(VALU_DEP_3) | instskip(NEXT) | instid1(VALU_DEP_3)
	v_fma_f64 v[12:13], v[12:13], v[16:17], -v[95:96]
	v_fma_f64 v[14:15], v[14:15], v[16:17], v[18:19]
	v_mul_f64 v[16:17], v[10:11], v[147:148]
	v_mul_f64 v[18:19], v[8:9], v[147:148]
	s_delay_alu instid0(VALU_DEP_2) | instskip(NEXT) | instid1(VALU_DEP_2)
	v_fma_f64 v[8:9], v[8:9], v[145:146], -v[16:17]
	v_fma_f64 v[10:11], v[10:11], v[145:146], v[18:19]
	s_clause 0x1
	global_load_b128 v[16:19], v[85:86], off offset:1600
	global_load_b128 v[145:148], v[85:86], off offset:3040
	s_waitcnt vmcnt(1) lgkmcnt(0)
	v_mul_f64 v[85:86], v[6:7], v[18:19]
	v_mul_f64 v[18:19], v[4:5], v[18:19]
	s_delay_alu instid0(VALU_DEP_2) | instskip(NEXT) | instid1(VALU_DEP_2)
	v_fma_f64 v[4:5], v[4:5], v[16:17], -v[85:86]
	v_fma_f64 v[6:7], v[6:7], v[16:17], v[18:19]
	v_mul_f64 v[16:17], v[30:31], v[107:108]
	v_mul_f64 v[18:19], v[28:29], v[107:108]
	s_delay_alu instid0(VALU_DEP_2) | instskip(NEXT) | instid1(VALU_DEP_2)
	v_fma_f64 v[16:17], v[28:29], v[105:106], -v[16:17]
	v_fma_f64 v[18:19], v[30:31], v[105:106], v[18:19]
	v_mul_f64 v[28:29], v[47:48], v[43:44]
	v_mul_f64 v[30:31], v[45:46], v[43:44]
	s_waitcnt vmcnt(0)
	v_mul_f64 v[43:44], v[121:122], v[147:148]
	s_delay_alu instid0(VALU_DEP_3) | instskip(NEXT) | instid1(VALU_DEP_3)
	v_fma_f64 v[28:29], v[45:46], v[41:42], -v[28:29]
	v_fma_f64 v[30:31], v[47:48], v[41:42], v[30:31]
	v_mul_f64 v[41:42], v[123:124], v[147:148]
	s_delay_alu instid0(VALU_DEP_4) | instskip(NEXT) | instid1(VALU_DEP_2)
	v_fma_f64 v[43:44], v[123:124], v[145:146], v[43:44]
	v_fma_f64 v[41:42], v[121:122], v[145:146], -v[41:42]
	ds_store_b128 v32, v[137:140]
	ds_store_b128 v32, v[133:136] offset:14400
	ds_store_b128 v32, v[129:132] offset:28800
	;; [unrolled: 1-line block ×29, first 2 shown]
	s_waitcnt lgkmcnt(0)
	s_barrier
	buffer_gl0_inv
	ds_load_b128 v[5:8], v32
	ds_load_b128 v[0:3], v32 offset:14400
	ds_load_b128 v[9:12], v32 offset:12960
	;; [unrolled: 1-line block ×5, first 2 shown]
	s_waitcnt lgkmcnt(4)
	v_add_f64 v[25:26], v[5:6], v[0:1]
	v_add_f64 v[27:28], v[7:8], v[2:3]
	s_waitcnt lgkmcnt(1)
	v_add_f64 v[29:30], v[0:1], v[17:18]
	v_add_f64 v[97:98], v[2:3], -v[19:20]
	v_add_f64 v[99:100], v[2:3], v[19:20]
	v_add_f64 v[101:102], v[0:1], -v[17:18]
	s_waitcnt lgkmcnt(0)
	v_add_f64 v[171:172], v[23:24], v[15:16]
	v_add_f64 v[173:174], v[21:22], -v[13:14]
	v_add_f64 v[0:1], v[25:26], v[17:18]
	v_add_f64 v[2:3], v[27:28], v[19:20]
	ds_load_b128 v[17:20], v32 offset:15840
	ds_load_b128 v[25:28], v32 offset:1440
	ds_load_b128 v[33:36], v32 offset:2880
	ds_load_b128 v[37:40], v32 offset:17280
	ds_load_b128 v[41:44], v32 offset:30240
	ds_load_b128 v[45:48], v32 offset:31680
	s_waitcnt lgkmcnt(4)
	v_add_f64 v[49:50], v[25:26], v[17:18]
	v_add_f64 v[51:52], v[27:28], v[19:20]
	s_waitcnt lgkmcnt(1)
	v_add_f64 v[103:104], v[17:18], v[41:42]
	v_add_f64 v[105:106], v[19:20], -v[43:44]
	v_add_f64 v[107:108], v[19:20], v[43:44]
	v_add_f64 v[109:110], v[17:18], -v[41:42]
	s_waitcnt lgkmcnt(0)
	v_add_f64 v[111:112], v[37:38], v[45:46]
	v_add_f64 v[113:114], v[39:40], -v[47:48]
	v_add_f64 v[115:116], v[39:40], v[47:48]
	v_add_f64 v[117:118], v[37:38], -v[45:46]
	v_add_f64 v[17:18], v[49:50], v[41:42]
	v_add_f64 v[19:20], v[51:52], v[43:44]
	v_add_f64 v[41:42], v[33:34], v[37:38]
	v_add_f64 v[43:44], v[35:36], v[39:40]
	s_delay_alu instid0(VALU_DEP_2) | instskip(NEXT) | instid1(VALU_DEP_2)
	v_add_f64 v[37:38], v[41:42], v[45:46]
	v_add_f64 v[39:40], v[43:44], v[47:48]
	ds_load_b128 v[41:44], v32 offset:18720
	ds_load_b128 v[45:48], v32 offset:4320
	ds_load_b128 v[49:52], v32 offset:5760
	ds_load_b128 v[53:56], v32 offset:20160
	ds_load_b128 v[57:60], v32 offset:33120
	ds_load_b128 v[61:64], v32 offset:34560
	s_waitcnt lgkmcnt(4)
	v_add_f64 v[65:66], v[45:46], v[41:42]
	v_add_f64 v[67:68], v[47:48], v[43:44]
	s_waitcnt lgkmcnt(1)
	v_add_f64 v[119:120], v[41:42], v[57:58]
	v_add_f64 v[121:122], v[43:44], -v[59:60]
	v_add_f64 v[123:124], v[43:44], v[59:60]
	v_add_f64 v[125:126], v[41:42], -v[57:58]
	s_waitcnt lgkmcnt(0)
	v_add_f64 v[127:128], v[53:54], v[61:62]
	v_add_f64 v[129:130], v[55:56], -v[63:64]
	v_add_f64 v[131:132], v[55:56], v[63:64]
	v_add_f64 v[133:134], v[53:54], -v[61:62]
	v_add_f64 v[41:42], v[65:66], v[57:58]
	v_add_f64 v[43:44], v[67:68], v[59:60]
	v_add_f64 v[57:58], v[49:50], v[53:54]
	v_add_f64 v[59:60], v[51:52], v[55:56]
	s_delay_alu instid0(VALU_DEP_2) | instskip(NEXT) | instid1(VALU_DEP_2)
	;; [unrolled: 26-line block ×3, first 2 shown]
	v_add_f64 v[69:70], v[73:74], v[77:78]
	v_add_f64 v[71:72], v[75:76], v[79:80]
	ds_load_b128 v[73:76], v32 offset:24480
	ds_load_b128 v[77:80], v32 offset:10080
	;; [unrolled: 1-line block ×6, first 2 shown]
	s_waitcnt lgkmcnt(0)
	s_barrier
	buffer_gl0_inv
	v_add_f64 v[156:157], v[79:80], v[75:76]
	v_add_f64 v[154:155], v[77:78], v[73:74]
	v_add_f64 v[161:162], v[75:76], -v[91:92]
	v_add_f64 v[163:164], v[75:76], v[91:92]
	v_add_f64 v[167:168], v[87:88], v[95:96]
	;; [unrolled: 1-line block ×3, first 2 shown]
	v_add_f64 v[165:166], v[73:74], -v[89:90]
	v_add_f64 v[169:170], v[85:86], -v[93:94]
	v_add_f64 v[75:76], v[156:157], v[91:92]
	v_add_f64 v[91:92], v[83:84], v[87:88]
	v_add_f64 v[156:157], v[87:88], -v[95:96]
	v_add_f64 v[73:74], v[154:155], v[89:90]
	v_add_f64 v[89:90], v[81:82], v[85:86]
	;; [unrolled: 1-line block ×5, first 2 shown]
	v_add_f64 v[95:96], v[23:24], -v[15:16]
	v_fma_f64 v[23:24], v[99:100], -0.5, v[7:8]
	scratch_load_b32 v8, off, off offset:504 ; 4-byte Folded Reload
	v_add_f64 v[85:86], v[89:90], v[93:94]
	v_add_f64 v[89:90], v[9:10], v[21:22]
	;; [unrolled: 1-line block ×3, first 2 shown]
	v_fma_f64 v[21:22], v[29:30], -0.5, v[5:6]
	v_add_f64 v[15:16], v[91:92], v[15:16]
	v_fma_f64 v[6:7], v[101:102], s[8:9], v[23:24]
	v_fma_f64 v[23:24], v[101:102], s[2:3], v[23:24]
	v_add_f64 v[13:14], v[89:90], v[13:14]
	v_fma_f64 v[4:5], v[97:98], s[2:3], v[21:22]
	v_fma_f64 v[21:22], v[97:98], s[8:9], v[21:22]
	s_waitcnt vmcnt(0)
	ds_store_b128 v8, v[0:3]
	ds_store_b128 v8, v[4:7] offset:16
	ds_store_b128 v8, v[21:24] offset:32
	scratch_load_b32 v8, off, off offset:508 ; 4-byte Folded Reload
	v_fma_f64 v[2:3], v[103:104], -0.5, v[25:26]
	v_fma_f64 v[6:7], v[107:108], -0.5, v[27:28]
	s_delay_alu instid0(VALU_DEP_2) | instskip(SKIP_1) | instid1(VALU_DEP_3)
	v_fma_f64 v[0:1], v[105:106], s[2:3], v[2:3]
	v_fma_f64 v[4:5], v[105:106], s[8:9], v[2:3]
	v_fma_f64 v[2:3], v[109:110], s[8:9], v[6:7]
	v_fma_f64 v[6:7], v[109:110], s[2:3], v[6:7]
	s_waitcnt vmcnt(0)
	ds_store_b128 v8, v[17:20]
	ds_store_b128 v8, v[0:3] offset:16
	ds_store_b128 v8, v[4:7] offset:32
	scratch_load_b32 v8, off, off offset:500 ; 4-byte Folded Reload
	v_fma_f64 v[2:3], v[111:112], -0.5, v[33:34]
	v_fma_f64 v[6:7], v[115:116], -0.5, v[35:36]
	s_delay_alu instid0(VALU_DEP_2) | instskip(SKIP_1) | instid1(VALU_DEP_3)
	v_fma_f64 v[0:1], v[113:114], s[2:3], v[2:3]
	v_fma_f64 v[4:5], v[113:114], s[8:9], v[2:3]
	;; [unrolled: 12-line block ×9, first 2 shown]
	v_fma_f64 v[2:3], v[173:174], s[8:9], v[6:7]
	v_fma_f64 v[6:7], v[173:174], s[2:3], v[6:7]
	s_waitcnt vmcnt(0)
	ds_store_b128 v8, v[13:16]
	ds_store_b128 v8, v[0:3] offset:16
	ds_store_b128 v8, v[4:7] offset:32
	s_waitcnt lgkmcnt(0)
	s_barrier
	buffer_gl0_inv
	ds_load_b128 v[0:3], v32 offset:4320
	ds_load_b128 v[4:7], v32 offset:5760
	scratch_load_b128 v[10:13], off, off offset:1732 ; 16-byte Folded Reload
	s_waitcnt vmcnt(0) lgkmcnt(1)
	v_mul_f64 v[8:9], v[12:13], v[2:3]
	s_delay_alu instid0(VALU_DEP_1) | instskip(SKIP_1) | instid1(VALU_DEP_1)
	v_fma_f64 v[96:97], v[10:11], v[0:1], v[8:9]
	v_mul_f64 v[0:1], v[12:13], v[0:1]
	v_fma_f64 v[98:99], v[10:11], v[2:3], -v[0:1]
	ds_load_b128 v[0:3], v32 offset:8640
	ds_load_b128 v[8:11], v32 offset:7200
	scratch_load_b128 v[14:17], off, off offset:1556 ; 16-byte Folded Reload
	s_waitcnt vmcnt(0) lgkmcnt(1)
	v_mul_f64 v[12:13], v[16:17], v[2:3]
	s_delay_alu instid0(VALU_DEP_1) | instskip(SKIP_1) | instid1(VALU_DEP_1)
	v_fma_f64 v[100:101], v[14:15], v[0:1], v[12:13]
	v_mul_f64 v[0:1], v[16:17], v[0:1]
	v_fma_f64 v[102:103], v[14:15], v[2:3], -v[0:1]
	;; [unrolled: 9-line block ×5, first 2 shown]
	ds_load_b128 v[0:3], v32 offset:25920
	ds_load_b128 v[28:31], v32 offset:24480
	scratch_load_b128 v[33:36], off, off offset:1332 ; 16-byte Folded Reload
	s_waitcnt vmcnt(0) lgkmcnt(1)
	v_mul_f64 v[24:25], v[35:36], v[2:3]
	s_delay_alu instid0(VALU_DEP_1) | instskip(SKIP_1) | instid1(VALU_DEP_2)
	v_fma_f64 v[116:117], v[33:34], v[0:1], v[24:25]
	v_mul_f64 v[0:1], v[35:36], v[0:1]
	v_add_f64 v[165:166], v[108:109], -v[116:117]
	s_delay_alu instid0(VALU_DEP_2)
	v_fma_f64 v[118:119], v[33:34], v[2:3], -v[0:1]
	ds_load_b128 v[0:3], v32 offset:30240
	ds_load_b128 v[24:27], v32 offset:31680
	scratch_load_b128 v[35:38], off, off offset:1380 ; 16-byte Folded Reload
	v_add_f64 v[161:162], v[110:111], -v[118:119]
	s_waitcnt vmcnt(0) lgkmcnt(1)
	v_mul_f64 v[33:34], v[37:38], v[2:3]
	s_delay_alu instid0(VALU_DEP_1) | instskip(SKIP_1) | instid1(VALU_DEP_2)
	v_fma_f64 v[120:121], v[35:36], v[0:1], v[33:34]
	v_mul_f64 v[0:1], v[37:38], v[0:1]
	v_add_f64 v[149:150], v[112:113], -v[120:121]
	s_delay_alu instid0(VALU_DEP_2)
	v_fma_f64 v[122:123], v[35:36], v[2:3], -v[0:1]
	ds_load_b128 v[0:3], v32 offset:34560
	ds_load_b128 v[44:47], v32 offset:33120
	scratch_load_b128 v[35:38], off, off offset:1316 ; 16-byte Folded Reload
	v_add_f64 v[154:155], v[114:115], -v[122:123]
	;; [unrolled: 12-line block ×3, first 2 shown]
	s_waitcnt vmcnt(0) lgkmcnt(1)
	v_mul_f64 v[37:38], v[41:42], v[2:3]
	s_delay_alu instid0(VALU_DEP_1) | instskip(SKIP_1) | instid1(VALU_DEP_2)
	v_fma_f64 v[128:129], v[39:40], v[0:1], v[37:38]
	v_mul_f64 v[0:1], v[41:42], v[0:1]
	v_add_f64 v[147:148], v[104:105], -v[128:129]
	s_delay_alu instid0(VALU_DEP_2) | instskip(SKIP_4) | instid1(VALU_DEP_1)
	v_fma_f64 v[130:131], v[39:40], v[2:3], -v[0:1]
	scratch_load_b128 v[37:40], off, off offset:1364 ; 16-byte Folded Reload
	v_add_f64 v[151:152], v[106:107], -v[130:131]
	s_waitcnt vmcnt(0)
	v_mul_f64 v[0:1], v[39:40], v[6:7]
	v_fma_f64 v[56:57], v[37:38], v[4:5], v[0:1]
	v_mul_f64 v[0:1], v[39:40], v[4:5]
	s_delay_alu instid0(VALU_DEP_1)
	v_fma_f64 v[58:59], v[37:38], v[6:7], -v[0:1]
	ds_load_b128 v[0:3], v32 offset:10080
	ds_load_b128 v[37:40], v32 offset:11520
	scratch_load_b128 v[48:51], off, off offset:1396 ; 16-byte Folded Reload
	s_waitcnt vmcnt(0) lgkmcnt(1)
	v_mul_f64 v[4:5], v[50:51], v[2:3]
	s_delay_alu instid0(VALU_DEP_1) | instskip(SKIP_1) | instid1(VALU_DEP_1)
	v_fma_f64 v[88:89], v[48:49], v[0:1], v[4:5]
	v_mul_f64 v[0:1], v[50:51], v[0:1]
	v_fma_f64 v[90:91], v[48:49], v[2:3], -v[0:1]
	scratch_load_b128 v[2:5], off, off offset:1412 ; 16-byte Folded Reload
	s_waitcnt vmcnt(0)
	v_mul_f64 v[0:1], v[4:5], v[14:15]
	s_delay_alu instid0(VALU_DEP_1) | instskip(SKIP_1) | instid1(VALU_DEP_1)
	v_fma_f64 v[78:79], v[2:3], v[12:13], v[0:1]
	v_mul_f64 v[0:1], v[4:5], v[12:13]
	v_fma_f64 v[76:77], v[2:3], v[14:15], -v[0:1]
	ds_load_b128 v[0:3], v32 offset:18720
	ds_load_b128 v[12:15], v32 offset:20160
	scratch_load_b128 v[48:51], off, off offset:1428 ; 16-byte Folded Reload
	s_waitcnt vmcnt(0) lgkmcnt(1)
	v_mul_f64 v[4:5], v[50:51], v[2:3]
	s_delay_alu instid0(VALU_DEP_1) | instskip(SKIP_1) | instid1(VALU_DEP_1)
	v_fma_f64 v[92:93], v[48:49], v[0:1], v[4:5]
	v_mul_f64 v[0:1], v[50:51], v[0:1]
	v_fma_f64 v[66:67], v[48:49], v[2:3], -v[0:1]
	scratch_load_b128 v[2:5], off, off offset:1460 ; 16-byte Folded Reload
	s_waitcnt vmcnt(0)
	v_mul_f64 v[0:1], v[4:5], v[22:23]
	s_delay_alu instid0(VALU_DEP_1) | instskip(SKIP_1) | instid1(VALU_DEP_1)
	v_fma_f64 v[94:95], v[2:3], v[20:21], v[0:1]
	v_mul_f64 v[0:1], v[4:5], v[20:21]
	;; [unrolled: 16-line block ×4, first 2 shown]
	v_fma_f64 v[68:69], v[2:3], v[35:36], -v[0:1]
	scratch_load_b128 v[2:5], off, off offset:1604 ; 16-byte Folded Reload
	s_waitcnt vmcnt(0)
	v_mul_f64 v[0:1], v[4:5], v[10:11]
	s_delay_alu instid0(VALU_DEP_1)
	v_fma_f64 v[48:49], v[2:3], v[8:9], v[0:1]
	v_mul_f64 v[0:1], v[4:5], v[8:9]
	scratch_load_b128 v[6:9], off, off offset:1620 ; 16-byte Folded Reload
	v_fma_f64 v[4:5], v[2:3], v[10:11], -v[0:1]
	s_waitcnt vmcnt(0)
	v_mul_f64 v[0:1], v[8:9], v[39:40]
	s_delay_alu instid0(VALU_DEP_1) | instskip(SKIP_1) | instid1(VALU_DEP_1)
	v_fma_f64 v[50:51], v[6:7], v[37:38], v[0:1]
	v_mul_f64 v[0:1], v[8:9], v[37:38]
	v_fma_f64 v[40:41], v[6:7], v[39:40], -v[0:1]
	scratch_load_b128 v[6:9], off, off offset:1636 ; 16-byte Folded Reload
	s_waitcnt vmcnt(0)
	v_mul_f64 v[0:1], v[8:9], v[18:19]
	s_delay_alu instid0(VALU_DEP_1) | instskip(SKIP_1) | instid1(VALU_DEP_1)
	v_fma_f64 v[34:35], v[6:7], v[16:17], v[0:1]
	v_mul_f64 v[0:1], v[8:9], v[16:17]
	v_fma_f64 v[24:25], v[6:7], v[18:19], -v[0:1]
	scratch_load_b128 v[6:9], off, off offset:1652 ; 16-byte Folded Reload
	;; [unrolled: 7-line block ×6, first 2 shown]
	s_waitcnt vmcnt(0) lgkmcnt(0)
	v_mul_f64 v[0:1], v[8:9], v[86:87]
	s_delay_alu instid0(VALU_DEP_1) | instskip(SKIP_1) | instid1(VALU_DEP_1)
	v_fma_f64 v[52:53], v[6:7], v[84:85], v[0:1]
	v_mul_f64 v[0:1], v[8:9], v[84:85]
	v_fma_f64 v[20:21], v[6:7], v[86:87], -v[0:1]
	ds_load_b128 v[0:3], v32 offset:41760
	ds_load_b128 v[6:9], v32
	scratch_load_b128 v[12:15], off, off offset:1572 ; 16-byte Folded Reload
	s_waitcnt vmcnt(0) lgkmcnt(1)
	v_mul_f64 v[10:11], v[14:15], v[2:3]
	s_delay_alu instid0(VALU_DEP_1) | instskip(SKIP_2) | instid1(VALU_DEP_2)
	v_fma_f64 v[54:55], v[12:13], v[0:1], v[10:11]
	v_mul_f64 v[0:1], v[14:15], v[0:1]
	v_add_f64 v[10:11], v[110:111], v[118:119]
	v_fma_f64 v[22:23], v[12:13], v[2:3], -v[0:1]
	v_add_f64 v[0:1], v[108:109], v[116:117]
	v_add_f64 v[2:3], v[100:101], v[124:125]
	s_waitcnt lgkmcnt(0)
	s_delay_alu instid0(VALU_DEP_4)
	v_fma_f64 v[132:133], v[10:11], -0.5, v[8:9]
	v_add_f64 v[10:11], v[102:103], v[126:127]
	v_add_f64 v[12:13], v[98:99], v[106:107]
	v_fma_f64 v[0:1], v[0:1], -0.5, v[6:7]
	v_fma_f64 v[2:3], v[2:3], -0.5, v[6:7]
	v_add_f64 v[6:7], v[6:7], v[100:101]
	v_fma_f64 v[134:135], v[10:11], -0.5, v[8:9]
	v_add_f64 v[8:9], v[8:9], v[102:103]
	v_add_f64 v[10:11], v[96:97], v[104:105]
	;; [unrolled: 1-line block ×4, first 2 shown]
	s_delay_alu instid0(VALU_DEP_4) | instskip(NEXT) | instid1(VALU_DEP_4)
	v_add_f64 v[8:9], v[8:9], v[110:111]
	v_add_f64 v[10:11], v[10:11], v[112:113]
	s_delay_alu instid0(VALU_DEP_4) | instskip(NEXT) | instid1(VALU_DEP_4)
	v_add_f64 v[12:13], v[12:13], v[122:123]
	v_add_f64 v[6:7], v[6:7], v[116:117]
	;; [unrolled: 3-line block ×3, first 2 shown]
	s_delay_alu instid0(VALU_DEP_3) | instskip(NEXT) | instid1(VALU_DEP_3)
	v_add_f64 v[6:7], v[6:7], v[124:125]
	v_add_f64 v[14:15], v[8:9], v[126:127]
	s_delay_alu instid0(VALU_DEP_3) | instskip(SKIP_2) | instid1(VALU_DEP_3)
	v_add_f64 v[8:9], v[10:11], v[128:129]
	v_add_f64 v[10:11], v[12:13], v[130:131]
	v_add_f64 v[12:13], v[124:125], -v[116:117]
	v_add_f64 v[44:45], v[6:7], v[8:9]
	v_add_f64 v[8:9], v[6:7], -v[8:9]
	v_add_f64 v[6:7], v[100:101], -v[108:109]
	v_add_f64 v[46:47], v[14:15], v[10:11]
	v_add_f64 v[10:11], v[14:15], -v[10:11]
	v_add_f64 v[14:15], v[126:127], -v[118:119]
	;; [unrolled: 1-line block ×6, first 2 shown]
	v_add_f64 v[6:7], v[6:7], v[12:13]
	v_add_f64 v[12:13], v[102:103], -v[110:111]
	v_add_f64 v[102:103], v[110:111], -v[102:103]
	;; [unrolled: 1-line block ×4, first 2 shown]
	v_add_f64 v[108:109], v[100:101], v[108:109]
	v_add_f64 v[126:127], v[88:89], -v[72:73]
	v_add_f64 v[136:137], v[12:13], v[14:15]
	v_add_f64 v[12:13], v[104:105], -v[112:113]
	v_add_f64 v[14:15], v[128:129], -v[120:121]
	v_add_f64 v[110:111], v[102:103], v[110:111]
	s_delay_alu instid0(VALU_DEP_2) | instskip(SKIP_2) | instid1(VALU_DEP_1)
	v_add_f64 v[138:139], v[12:13], v[14:15]
	v_add_f64 v[12:13], v[106:107], -v[114:115]
	v_add_f64 v[14:15], v[130:131], -v[122:123]
	v_add_f64 v[140:141], v[12:13], v[14:15]
	v_add_f64 v[12:13], v[112:113], v[120:121]
	v_add_f64 v[112:113], v[112:113], -v[104:105]
	v_add_f64 v[104:105], v[104:105], v[128:129]
	v_add_f64 v[128:129], v[92:93], -v[80:81]
	s_delay_alu instid0(VALU_DEP_4)
	v_fma_f64 v[143:144], v[12:13], -0.5, v[96:97]
	v_add_f64 v[12:13], v[114:115], v[122:123]
	v_add_f64 v[114:115], v[114:115], -v[106:107]
	v_add_f64 v[106:107], v[106:107], v[130:131]
	v_fma_f64 v[104:105], v[104:105], -0.5, v[96:97]
	v_add_f64 v[112:113], v[112:113], v[116:117]
	v_fma_f64 v[14:15], v[151:152], s[20:21], v[143:144]
	v_fma_f64 v[145:146], v[12:13], -0.5, v[98:99]
	v_add_f64 v[114:115], v[114:115], v[118:119]
	v_fma_f64 v[106:107], v[106:107], -0.5, v[98:99]
	v_fma_f64 v[98:99], v[154:155], s[18:19], v[104:105]
	v_fma_f64 v[104:105], v[154:155], s[20:21], v[104:105]
	;; [unrolled: 1-line block ×16, first 2 shown]
	s_delay_alu instid0(VALU_DEP_4) | instskip(SKIP_1) | instid1(VALU_DEP_4)
	v_fma_f64 v[106:107], v[114:115], s[14:15], v[106:107]
	v_fma_f64 v[114:115], v[151:152], s[18:19], v[143:144]
	v_mul_f64 v[84:85], v[12:13], s[16:17]
	v_mul_f64 v[12:13], v[12:13], s[22:23]
	v_mul_f64 v[100:101], v[96:97], s[20:21]
	v_mul_f64 v[96:97], v[96:97], s[14:15]
	v_fma_f64 v[114:115], v[154:155], s[12:13], v[114:115]
	v_fma_f64 v[156:157], v[14:15], s[22:23], v[84:85]
	;; [unrolled: 1-line block ×24, first 2 shown]
	v_add_f64 v[96:97], v[116:117], v[100:101]
	v_add_f64 v[100:101], v[116:117], -v[100:101]
	v_fma_f64 v[108:109], v[163:164], s[16:17], v[108:109]
	v_add_f64 v[98:99], v[118:119], v[102:103]
	v_add_f64 v[102:103], v[118:119], -v[102:103]
	v_add_f64 v[84:85], v[12:13], v[156:157]
	v_add_f64 v[86:87], v[167:168], v[14:15]
	v_add_f64 v[12:13], v[12:13], -v[156:157]
	v_add_f64 v[14:15], v[167:168], -v[14:15]
	v_fma_f64 v[110:111], v[110:111], s[14:15], v[108:109]
	v_mul_f64 v[108:109], v[106:107], s[20:21]
	v_mul_f64 v[106:107], v[106:107], s[24:25]
	s_delay_alu instid0(VALU_DEP_2) | instskip(NEXT) | instid1(VALU_DEP_2)
	v_fma_f64 v[108:109], v[104:105], s[24:25], v[108:109]
	v_fma_f64 v[112:113], v[104:105], s[18:19], v[106:107]
	s_delay_alu instid0(VALU_DEP_2) | instskip(SKIP_2) | instid1(VALU_DEP_4)
	v_add_f64 v[104:105], v[2:3], v[108:109]
	v_add_f64 v[108:109], v[2:3], -v[108:109]
	v_fma_f64 v[2:3], v[147:148], s[20:21], v[145:146]
	v_add_f64 v[106:107], v[110:111], v[112:113]
	v_add_f64 v[110:111], v[110:111], -v[112:113]
	v_fma_f64 v[112:113], v[163:164], s[20:21], v[132:133]
	s_delay_alu instid0(VALU_DEP_4) | instskip(NEXT) | instid1(VALU_DEP_2)
	v_fma_f64 v[2:3], v[149:150], s[16:17], v[2:3]
	v_fma_f64 v[112:113], v[165:166], s[16:17], v[112:113]
	s_delay_alu instid0(VALU_DEP_2) | instskip(NEXT) | instid1(VALU_DEP_2)
	v_fma_f64 v[2:3], v[140:141], s[14:15], v[2:3]
	v_fma_f64 v[6:7], v[136:137], s[14:15], v[112:113]
	;; [unrolled: 1-line block ×3, first 2 shown]
	s_delay_alu instid0(VALU_DEP_3) | instskip(SKIP_1) | instid1(VALU_DEP_2)
	v_mul_f64 v[114:115], v[2:3], s[16:17]
	v_mul_f64 v[2:3], v[2:3], s[26:27]
	v_fma_f64 v[116:117], v[112:113], s[26:27], v[114:115]
	s_delay_alu instid0(VALU_DEP_2) | instskip(NEXT) | instid1(VALU_DEP_2)
	v_fma_f64 v[2:3], v[112:113], s[12:13], v[2:3]
	v_add_f64 v[112:113], v[0:1], v[116:117]
	s_delay_alu instid0(VALU_DEP_2)
	v_add_f64 v[114:115], v[6:7], v[2:3]
	v_add_f64 v[116:117], v[0:1], -v[116:117]
	v_add_f64 v[118:119], v[6:7], -v[2:3]
	ds_load_b128 v[120:123], v32 offset:1440
	ds_load_b128 v[0:3], v32 offset:2880
	s_waitcnt lgkmcnt(0)
	s_barrier
	buffer_gl0_inv
	scratch_load_b32 v6, off, off offset:1312 ; 4-byte Folded Reload
	s_waitcnt vmcnt(0)
	ds_store_b128 v6, v[44:47]
	ds_store_b128 v6, v[8:11] offset:240
	ds_store_b128 v6, v[84:87] offset:48
	;; [unrolled: 1-line block ×9, first 2 shown]
	v_add_f64 v[6:7], v[92:93], v[80:81]
	v_add_f64 v[8:9], v[122:123], v[90:91]
	;; [unrolled: 1-line block ×4, first 2 shown]
	v_add_f64 v[114:115], v[78:79], -v[70:71]
	v_add_f64 v[116:117], v[94:95], -v[62:63]
	;; [unrolled: 1-line block ×3, first 2 shown]
	v_fma_f64 v[14:15], v[6:7], -0.5, v[120:121]
	v_add_f64 v[6:7], v[88:89], v[72:73]
	v_add_f64 v[8:9], v[8:9], v[66:67]
	;; [unrolled: 1-line block ×4, first 2 shown]
	s_delay_alu instid0(VALU_DEP_4) | instskip(SKIP_4) | instid1(VALU_DEP_4)
	v_fma_f64 v[96:97], v[6:7], -0.5, v[120:121]
	v_add_f64 v[6:7], v[66:67], v[82:83]
	v_add_f64 v[8:9], v[8:9], v[82:83]
	;; [unrolled: 1-line block ×4, first 2 shown]
	v_fma_f64 v[98:99], v[6:7], -0.5, v[122:123]
	v_add_f64 v[6:7], v[90:91], v[74:75]
	v_add_f64 v[46:47], v[8:9], v[74:75]
	;; [unrolled: 1-line block ×4, first 2 shown]
	s_delay_alu instid0(VALU_DEP_4) | instskip(SKIP_2) | instid1(VALU_DEP_4)
	v_fma_f64 v[100:101], v[6:7], -0.5, v[122:123]
	v_add_f64 v[6:7], v[120:121], v[88:89]
	v_add_f64 v[120:121], v[64:65], -v[60:61]
	v_add_f64 v[8:9], v[46:47], v[12:13]
	v_add_f64 v[12:13], v[46:47], -v[12:13]
	v_add_f64 v[46:47], v[72:73], -v[80:81]
	;; [unrolled: 1-line block ×3, first 2 shown]
	v_add_f64 v[6:7], v[6:7], v[92:93]
	s_delay_alu instid0(VALU_DEP_1) | instskip(NEXT) | instid1(VALU_DEP_1)
	v_add_f64 v[6:7], v[6:7], v[80:81]
	v_add_f64 v[44:45], v[6:7], v[72:73]
	v_add_f64 v[72:73], v[80:81], -v[72:73]
	v_add_f64 v[80:81], v[94:95], -v[78:79]
	s_delay_alu instid0(VALU_DEP_3) | instskip(SKIP_3) | instid1(VALU_DEP_2)
	v_add_f64 v[6:7], v[44:45], v[10:11]
	v_add_f64 v[10:11], v[44:45], -v[10:11]
	v_add_f64 v[44:45], v[88:89], -v[92:93]
	;; [unrolled: 1-line block ×3, first 2 shown]
	v_add_f64 v[102:103], v[44:45], v[46:47]
	v_add_f64 v[44:45], v[90:91], -v[66:67]
	v_add_f64 v[46:47], v[74:75], -v[82:83]
	;; [unrolled: 1-line block ×6, first 2 shown]
	v_add_f64 v[104:105], v[44:45], v[46:47]
	v_add_f64 v[44:45], v[78:79], -v[94:95]
	v_add_f64 v[46:47], v[70:71], -v[62:63]
	v_add_f64 v[78:79], v[78:79], v[70:71]
	v_add_f64 v[66:67], v[66:67], v[74:75]
	s_delay_alu instid0(VALU_DEP_3) | instskip(SKIP_2) | instid1(VALU_DEP_1)
	v_add_f64 v[106:107], v[44:45], v[46:47]
	v_add_f64 v[44:45], v[76:77], -v[64:65]
	v_add_f64 v[46:47], v[68:69], -v[60:61]
	v_add_f64 v[108:109], v[44:45], v[46:47]
	v_add_f64 v[44:45], v[94:95], v[62:63]
	v_add_f64 v[62:63], v[62:63], -v[70:71]
	v_add_f64 v[70:71], v[76:77], v[68:69]
	s_delay_alu instid0(VALU_DEP_3) | instskip(SKIP_2) | instid1(VALU_DEP_4)
	v_fma_f64 v[110:111], v[44:45], -0.5, v[56:57]
	v_add_f64 v[44:45], v[64:65], v[60:61]
	v_add_f64 v[60:61], v[60:61], -v[68:69]
	v_fma_f64 v[68:69], v[70:71], -0.5, v[58:59]
	v_add_f64 v[64:65], v[64:65], -v[76:77]
	v_add_f64 v[70:71], v[88:89], v[72:73]
	v_fma_f64 v[72:73], v[78:79], -0.5, v[56:57]
	v_add_f64 v[74:75], v[80:81], v[62:63]
	v_add_f64 v[88:89], v[50:51], -v[52:53]
	v_fma_f64 v[46:47], v[118:119], s[20:21], v[110:111]
	v_fma_f64 v[112:113], v[44:45], -0.5, v[58:59]
	v_fma_f64 v[56:57], v[116:117], s[20:21], v[68:69]
	v_add_f64 v[64:65], v[64:65], v[60:61]
	v_fma_f64 v[58:59], v[120:121], s[18:19], v[72:73]
	v_fma_f64 v[46:47], v[120:121], s[16:17], v[46:47]
	;; [unrolled: 1-line block ×4, first 2 shown]
	s_delay_alu instid0(VALU_DEP_4) | instskip(NEXT) | instid1(VALU_DEP_4)
	v_fma_f64 v[58:59], v[118:119], s[16:17], v[58:59]
	v_fma_f64 v[46:47], v[106:107], s[14:15], v[46:47]
	s_delay_alu instid0(VALU_DEP_4) | instskip(NEXT) | instid1(VALU_DEP_4)
	v_fma_f64 v[44:45], v[116:117], s[12:13], v[44:45]
	v_fma_f64 v[56:57], v[64:65], s[14:15], v[56:57]
	s_delay_alu instid0(VALU_DEP_4) | instskip(NEXT) | instid1(VALU_DEP_3)
	v_fma_f64 v[58:59], v[74:75], s[14:15], v[58:59]
	v_fma_f64 v[44:45], v[108:109], s[14:15], v[44:45]
	s_delay_alu instid0(VALU_DEP_3) | instskip(SKIP_1) | instid1(VALU_DEP_3)
	v_mul_f64 v[60:61], v[56:57], s[20:21]
	v_mul_f64 v[56:57], v[56:57], s[14:15]
	;; [unrolled: 1-line block ×4, first 2 shown]
	s_delay_alu instid0(VALU_DEP_4) | instskip(NEXT) | instid1(VALU_DEP_4)
	v_fma_f64 v[60:61], v[58:59], s[14:15], v[60:61]
	v_fma_f64 v[62:63], v[58:59], s[18:19], v[56:57]
	;; [unrolled: 1-line block ×18, first 2 shown]
	v_add_f64 v[56:57], v[76:77], v[60:61]
	v_add_f64 v[60:61], v[76:77], -v[60:61]
	v_fma_f64 v[76:77], v[124:125], s[20:21], v[96:97]
	v_add_f64 v[58:59], v[78:79], v[62:63]
	v_add_f64 v[62:63], v[78:79], -v[62:63]
	v_fma_f64 v[14:15], v[102:103], s[14:15], v[14:15]
	v_add_f64 v[44:45], v[130:131], v[84:85]
	v_add_f64 v[46:47], v[132:133], v[86:87]
	v_add_f64 v[84:85], v[130:131], -v[84:85]
	v_add_f64 v[86:87], v[132:133], -v[86:87]
	v_fma_f64 v[76:77], v[122:123], s[12:13], v[76:77]
	s_delay_alu instid0(VALU_DEP_1) | instskip(SKIP_1) | instid1(VALU_DEP_1)
	v_fma_f64 v[70:71], v[70:71], s[14:15], v[76:77]
	v_fma_f64 v[76:77], v[128:129], s[18:19], v[100:101]
	;; [unrolled: 1-line block ×3, first 2 shown]
	s_delay_alu instid0(VALU_DEP_1) | instskip(SKIP_1) | instid1(VALU_DEP_1)
	v_fma_f64 v[76:77], v[66:67], s[14:15], v[76:77]
	v_fma_f64 v[66:67], v[116:117], s[18:19], v[68:69]
	v_fma_f64 v[66:67], v[114:115], s[16:17], v[66:67]
	s_delay_alu instid0(VALU_DEP_1) | instskip(SKIP_1) | instid1(VALU_DEP_2)
	v_fma_f64 v[64:65], v[64:65], s[14:15], v[66:67]
	v_fma_f64 v[66:67], v[120:121], s[20:21], v[72:73]
	v_mul_f64 v[68:69], v[64:65], s[20:21]
	s_delay_alu instid0(VALU_DEP_2) | instskip(SKIP_1) | instid1(VALU_DEP_2)
	v_fma_f64 v[66:67], v[118:119], s[12:13], v[66:67]
	v_mul_f64 v[64:65], v[64:65], s[24:25]
	v_fma_f64 v[66:67], v[74:75], s[14:15], v[66:67]
	v_fma_f64 v[74:75], v[126:127], s[20:21], v[98:99]
	s_delay_alu instid0(VALU_DEP_2) | instskip(NEXT) | instid1(VALU_DEP_4)
	v_fma_f64 v[68:69], v[66:67], s[24:25], v[68:69]
	v_fma_f64 v[72:73], v[66:67], s[18:19], v[64:65]
	s_delay_alu instid0(VALU_DEP_3) | instskip(NEXT) | instid1(VALU_DEP_3)
	v_fma_f64 v[74:75], v[128:129], s[16:17], v[74:75]
	v_add_f64 v[64:65], v[70:71], v[68:69]
	s_delay_alu instid0(VALU_DEP_3)
	v_add_f64 v[66:67], v[76:77], v[72:73]
	v_add_f64 v[68:69], v[70:71], -v[68:69]
	v_add_f64 v[70:71], v[76:77], -v[72:73]
	v_fma_f64 v[72:73], v[114:115], s[20:21], v[112:113]
	v_fma_f64 v[76:77], v[118:119], s[18:19], v[110:111]
	;; [unrolled: 1-line block ×3, first 2 shown]
	s_delay_alu instid0(VALU_DEP_3) | instskip(NEXT) | instid1(VALU_DEP_3)
	v_fma_f64 v[72:73], v[116:117], s[16:17], v[72:73]
	v_fma_f64 v[76:77], v[120:121], s[12:13], v[76:77]
	s_delay_alu instid0(VALU_DEP_2) | instskip(NEXT) | instid1(VALU_DEP_2)
	v_fma_f64 v[72:73], v[108:109], s[14:15], v[72:73]
	v_fma_f64 v[74:75], v[106:107], s[14:15], v[76:77]
	s_delay_alu instid0(VALU_DEP_2) | instskip(SKIP_1) | instid1(VALU_DEP_2)
	v_mul_f64 v[76:77], v[72:73], s[16:17]
	v_mul_f64 v[72:73], v[72:73], s[26:27]
	v_fma_f64 v[76:77], v[74:75], s[26:27], v[76:77]
	s_delay_alu instid0(VALU_DEP_2) | instskip(NEXT) | instid1(VALU_DEP_2)
	v_fma_f64 v[80:81], v[74:75], s[12:13], v[72:73]
	v_add_f64 v[72:73], v[14:15], v[76:77]
	s_delay_alu instid0(VALU_DEP_2)
	v_add_f64 v[74:75], v[78:79], v[80:81]
	v_add_f64 v[76:77], v[14:15], -v[76:77]
	v_add_f64 v[78:79], v[78:79], -v[80:81]
	ds_store_b128 v215, v[6:9]
	ds_store_b128 v215, v[44:47] offset:48
	ds_store_b128 v215, v[56:59] offset:96
	;; [unrolled: 1-line block ×9, first 2 shown]
	v_add_f64 v[6:7], v[26:27], v[42:43]
	v_add_f64 v[8:9], v[4:5], v[24:25]
	v_add_f64 v[76:77], v[34:35], -v[54:55]
	v_add_f64 v[78:79], v[38:39], -v[28:29]
	;; [unrolled: 1-line block ×5, first 2 shown]
	v_fma_f64 v[56:57], v[6:7], -0.5, v[0:1]
	v_add_f64 v[6:7], v[50:51], v[52:53]
	v_add_f64 v[8:9], v[8:9], v[16:17]
	s_delay_alu instid0(VALU_DEP_2) | instskip(SKIP_2) | instid1(VALU_DEP_4)
	v_fma_f64 v[58:59], v[6:7], -0.5, v[0:1]
	v_add_f64 v[6:7], v[36:37], v[30:31]
	v_add_f64 v[0:1], v[0:1], v[50:51]
	;; [unrolled: 1-line block ×3, first 2 shown]
	s_delay_alu instid0(VALU_DEP_3) | instskip(SKIP_1) | instid1(VALU_DEP_4)
	v_fma_f64 v[60:61], v[6:7], -0.5, v[2:3]
	v_add_f64 v[6:7], v[40:41], v[20:21]
	v_add_f64 v[0:1], v[0:1], v[26:27]
	s_delay_alu instid0(VALU_DEP_4) | instskip(NEXT) | instid1(VALU_DEP_3)
	v_add_f64 v[8:9], v[8:9], v[22:23]
	v_fma_f64 v[62:63], v[6:7], -0.5, v[2:3]
	v_add_f64 v[2:3], v[2:3], v[40:41]
	v_add_f64 v[6:7], v[48:49], v[34:35]
	;; [unrolled: 1-line block ×3, first 2 shown]
	s_delay_alu instid0(VALU_DEP_3) | instskip(NEXT) | instid1(VALU_DEP_3)
	v_add_f64 v[2:3], v[2:3], v[36:37]
	v_add_f64 v[6:7], v[6:7], v[38:39]
	s_delay_alu instid0(VALU_DEP_3) | instskip(NEXT) | instid1(VALU_DEP_3)
	v_add_f64 v[10:11], v[0:1], v[52:53]
	v_add_f64 v[2:3], v[2:3], v[30:31]
	s_delay_alu instid0(VALU_DEP_3) | instskip(NEXT) | instid1(VALU_DEP_2)
	v_add_f64 v[6:7], v[6:7], v[28:29]
	v_add_f64 v[12:13], v[2:3], v[20:21]
	s_delay_alu instid0(VALU_DEP_2) | instskip(NEXT) | instid1(VALU_DEP_2)
	v_add_f64 v[6:7], v[6:7], v[54:55]
	v_add_f64 v[2:3], v[12:13], v[8:9]
	s_delay_alu instid0(VALU_DEP_2) | instskip(SKIP_4) | instid1(VALU_DEP_1)
	v_add_f64 v[0:1], v[10:11], v[6:7]
	v_add_f64 v[6:7], v[10:11], -v[6:7]
	v_add_f64 v[8:9], v[12:13], -v[8:9]
	;; [unrolled: 1-line block ×4, first 2 shown]
	v_add_f64 v[64:65], v[10:11], v[12:13]
	v_add_f64 v[10:11], v[40:41], -v[36:37]
	v_add_f64 v[12:13], v[20:21], -v[30:31]
	;; [unrolled: 1-line block ×5, first 2 shown]
	s_delay_alu instid0(VALU_DEP_4) | instskip(SKIP_3) | instid1(VALU_DEP_2)
	v_add_f64 v[66:67], v[10:11], v[12:13]
	v_add_f64 v[10:11], v[34:35], -v[38:39]
	v_add_f64 v[12:13], v[54:55], -v[28:29]
	v_add_f64 v[33:34], v[34:35], v[54:55]
	v_add_f64 v[68:69], v[10:11], v[12:13]
	v_add_f64 v[10:11], v[24:25], -v[16:17]
	v_add_f64 v[12:13], v[22:23], -v[18:19]
	s_delay_alu instid0(VALU_DEP_1) | instskip(SKIP_2) | instid1(VALU_DEP_2)
	v_add_f64 v[70:71], v[10:11], v[12:13]
	v_add_f64 v[10:11], v[38:39], v[28:29]
	v_add_f64 v[28:29], v[28:29], -v[54:55]
	v_fma_f64 v[72:73], v[10:11], -0.5, v[48:49]
	v_add_f64 v[10:11], v[16:17], v[18:19]
	v_add_f64 v[16:17], v[16:17], -v[24:25]
	v_add_f64 v[24:25], v[24:25], v[22:23]
	v_add_f64 v[18:19], v[18:19], -v[22:23]
	v_add_f64 v[28:29], v[30:31], v[28:29]
	v_fma_f64 v[12:13], v[80:81], s[20:21], v[72:73]
	v_fma_f64 v[74:75], v[10:11], -0.5, v[4:5]
	v_fma_f64 v[4:5], v[24:25], -0.5, v[4:5]
	v_add_f64 v[30:31], v[16:17], v[18:19]
	v_add_f64 v[24:25], v[36:37], v[20:21]
	v_fma_f64 v[12:13], v[82:83], s[16:17], v[12:13]
	v_fma_f64 v[10:11], v[76:77], s[18:19], v[74:75]
	s_delay_alu instid0(VALU_DEP_2) | instskip(NEXT) | instid1(VALU_DEP_2)
	v_fma_f64 v[12:13], v[68:69], s[14:15], v[12:13]
	v_fma_f64 v[10:11], v[78:79], s[12:13], v[10:11]
	s_delay_alu instid0(VALU_DEP_1) | instskip(NEXT) | instid1(VALU_DEP_1)
	v_fma_f64 v[10:11], v[70:71], s[14:15], v[10:11]
	v_mul_f64 v[14:15], v[10:11], s[16:17]
	v_mul_f64 v[10:11], v[10:11], s[22:23]
	s_delay_alu instid0(VALU_DEP_2) | instskip(NEXT) | instid1(VALU_DEP_2)
	v_fma_f64 v[14:15], v[12:13], s[22:23], v[14:15]
	v_fma_f64 v[46:47], v[12:13], s[12:13], v[10:11]
	;; [unrolled: 1-line block ×4, first 2 shown]
	s_delay_alu instid0(VALU_DEP_2) | instskip(NEXT) | instid1(VALU_DEP_2)
	v_fma_f64 v[10:11], v[86:87], s[16:17], v[10:11]
	v_fma_f64 v[12:13], v[90:91], s[12:13], v[12:13]
	s_delay_alu instid0(VALU_DEP_2) | instskip(NEXT) | instid1(VALU_DEP_2)
	v_fma_f64 v[44:45], v[64:65], s[14:15], v[10:11]
	v_fma_f64 v[92:93], v[66:67], s[14:15], v[12:13]
	s_delay_alu instid0(VALU_DEP_2)
	v_add_f64 v[10:11], v[44:45], v[14:15]
	v_add_f64 v[44:45], v[44:45], -v[14:15]
	v_add_f64 v[14:15], v[26:27], -v[50:51]
	;; [unrolled: 1-line block ×3, first 2 shown]
	v_add_f64 v[12:13], v[92:93], v[46:47]
	v_add_f64 v[46:47], v[92:93], -v[46:47]
	s_delay_alu instid0(VALU_DEP_3) | instskip(SKIP_3) | instid1(VALU_DEP_3)
	v_add_f64 v[22:23], v[14:15], v[26:27]
	v_fma_f64 v[26:27], v[33:34], -0.5, v[48:49]
	v_fma_f64 v[14:15], v[78:79], s[20:21], v[4:5]
	v_fma_f64 v[4:5], v[78:79], s[18:19], v[4:5]
	;; [unrolled: 1-line block ×3, first 2 shown]
	s_delay_alu instid0(VALU_DEP_3) | instskip(NEXT) | instid1(VALU_DEP_3)
	v_fma_f64 v[14:15], v[76:77], s[12:13], v[14:15]
	v_fma_f64 v[4:5], v[76:77], s[16:17], v[4:5]
	s_delay_alu instid0(VALU_DEP_3) | instskip(NEXT) | instid1(VALU_DEP_3)
	v_fma_f64 v[16:17], v[80:81], s[16:17], v[16:17]
	v_fma_f64 v[14:15], v[30:31], s[14:15], v[14:15]
	s_delay_alu instid0(VALU_DEP_3) | instskip(SKIP_1) | instid1(VALU_DEP_4)
	v_fma_f64 v[4:5], v[30:31], s[14:15], v[4:5]
	v_fma_f64 v[30:31], v[84:85], s[18:19], v[56:57]
	;; [unrolled: 1-line block ×3, first 2 shown]
	s_delay_alu instid0(VALU_DEP_4) | instskip(SKIP_1) | instid1(VALU_DEP_4)
	v_mul_f64 v[18:19], v[14:15], s[20:21]
	v_mul_f64 v[14:15], v[14:15], s[14:15]
	v_fma_f64 v[30:31], v[86:87], s[12:13], v[30:31]
	s_delay_alu instid0(VALU_DEP_3) | instskip(NEXT) | instid1(VALU_DEP_3)
	v_fma_f64 v[18:19], v[16:17], s[14:15], v[18:19]
	v_fma_f64 v[20:21], v[16:17], s[18:19], v[14:15]
	v_fma_f64 v[14:15], v[86:87], s[18:19], v[58:59]
	v_fma_f64 v[16:17], v[90:91], s[20:21], v[62:63]
	v_fma_f64 v[30:31], v[64:65], s[14:15], v[30:31]
	s_delay_alu instid0(VALU_DEP_3) | instskip(NEXT) | instid1(VALU_DEP_3)
	v_fma_f64 v[14:15], v[84:85], s[16:17], v[14:15]
	v_fma_f64 v[16:17], v[88:89], s[12:13], v[16:17]
	s_delay_alu instid0(VALU_DEP_2) | instskip(NEXT) | instid1(VALU_DEP_2)
	v_fma_f64 v[33:34], v[22:23], s[14:15], v[14:15]
	v_fma_f64 v[35:36], v[24:25], s[14:15], v[16:17]
	s_delay_alu instid0(VALU_DEP_2) | instskip(SKIP_2) | instid1(VALU_DEP_4)
	v_add_f64 v[14:15], v[33:34], v[18:19]
	v_add_f64 v[18:19], v[33:34], -v[18:19]
	v_fma_f64 v[33:34], v[86:87], s[20:21], v[58:59]
	v_add_f64 v[16:17], v[35:36], v[20:21]
	v_add_f64 v[20:21], v[35:36], -v[20:21]
	s_delay_alu instid0(VALU_DEP_3) | instskip(NEXT) | instid1(VALU_DEP_1)
	v_fma_f64 v[33:34], v[84:85], s[12:13], v[33:34]
	v_fma_f64 v[33:34], v[22:23], s[14:15], v[33:34]
	v_fma_f64 v[22:23], v[90:91], s[18:19], v[62:63]
	s_delay_alu instid0(VALU_DEP_1) | instskip(NEXT) | instid1(VALU_DEP_1)
	v_fma_f64 v[22:23], v[88:89], s[16:17], v[22:23]
	v_fma_f64 v[35:36], v[24:25], s[14:15], v[22:23]
	;; [unrolled: 1-line block ×3, first 2 shown]
	v_mul_f64 v[24:25], v[4:5], s[20:21]
	v_mul_f64 v[4:5], v[4:5], s[24:25]
	s_delay_alu instid0(VALU_DEP_3) | instskip(NEXT) | instid1(VALU_DEP_1)
	v_fma_f64 v[22:23], v[80:81], s[12:13], v[22:23]
	v_fma_f64 v[22:23], v[28:29], s[14:15], v[22:23]
	s_delay_alu instid0(VALU_DEP_1) | instskip(SKIP_1) | instid1(VALU_DEP_2)
	v_fma_f64 v[4:5], v[22:23], s[18:19], v[4:5]
	v_fma_f64 v[26:27], v[22:23], s[24:25], v[24:25]
	v_add_f64 v[24:25], v[35:36], v[4:5]
	v_add_f64 v[28:29], v[35:36], -v[4:5]
	v_fma_f64 v[4:5], v[76:77], s[20:21], v[74:75]
	s_delay_alu instid0(VALU_DEP_4) | instskip(SKIP_4) | instid1(VALU_DEP_3)
	v_add_f64 v[22:23], v[33:34], v[26:27]
	v_add_f64 v[26:27], v[33:34], -v[26:27]
	v_fma_f64 v[33:34], v[88:89], s[20:21], v[60:61]
	v_fma_f64 v[35:36], v[80:81], s[18:19], v[72:73]
	;; [unrolled: 1-line block ×4, first 2 shown]
	s_delay_alu instid0(VALU_DEP_3) | instskip(NEXT) | instid1(VALU_DEP_3)
	v_fma_f64 v[35:36], v[82:83], s[12:13], v[35:36]
	v_fma_f64 v[4:5], v[70:71], s[14:15], v[4:5]
	s_delay_alu instid0(VALU_DEP_3) | instskip(NEXT) | instid1(VALU_DEP_3)
	v_fma_f64 v[39:40], v[66:67], s[14:15], v[33:34]
	v_fma_f64 v[33:34], v[68:69], s[14:15], v[35:36]
	s_delay_alu instid0(VALU_DEP_3) | instskip(SKIP_1) | instid1(VALU_DEP_2)
	v_mul_f64 v[35:36], v[4:5], s[16:17]
	v_mul_f64 v[4:5], v[4:5], s[26:27]
	v_fma_f64 v[37:38], v[33:34], s[26:27], v[35:36]
	s_delay_alu instid0(VALU_DEP_2) | instskip(NEXT) | instid1(VALU_DEP_2)
	v_fma_f64 v[4:5], v[33:34], s[12:13], v[4:5]
	v_add_f64 v[33:34], v[30:31], v[37:38]
	s_delay_alu instid0(VALU_DEP_2)
	v_add_f64 v[35:36], v[39:40], v[4:5]
	v_add_f64 v[37:38], v[30:31], -v[37:38]
	v_add_f64 v[39:40], v[39:40], -v[4:5]
	ds_store_b128 v176, v[0:3]
	ds_store_b128 v176, v[10:13] offset:48
	ds_store_b128 v176, v[14:17] offset:96
	;; [unrolled: 1-line block ×9, first 2 shown]
	s_waitcnt lgkmcnt(0)
	s_barrier
	buffer_gl0_inv
	ds_load_b128 v[0:3], v32 offset:4320
	ds_load_b128 v[4:7], v32 offset:5760
	s_waitcnt lgkmcnt(1)
	v_mul_f64 v[8:9], v[179:180], v[2:3]
	s_delay_alu instid0(VALU_DEP_1) | instskip(SKIP_1) | instid1(VALU_DEP_1)
	v_fma_f64 v[96:97], v[177:178], v[0:1], v[8:9]
	v_mul_f64 v[0:1], v[179:180], v[0:1]
	v_fma_f64 v[98:99], v[177:178], v[2:3], -v[0:1]
	ds_load_b128 v[0:3], v32 offset:8640
	ds_load_b128 v[8:11], v32 offset:7200
	s_waitcnt lgkmcnt(1)
	v_mul_f64 v[12:13], v[234:235], v[2:3]
	s_delay_alu instid0(VALU_DEP_1) | instskip(SKIP_1) | instid1(VALU_DEP_1)
	v_fma_f64 v[100:101], v[232:233], v[0:1], v[12:13]
	v_mul_f64 v[0:1], v[234:235], v[0:1]
	v_fma_f64 v[102:103], v[232:233], v[2:3], -v[0:1]
	;; [unrolled: 8-line block ×3, first 2 shown]
	ds_load_b128 v[0:3], v32 offset:17280
	ds_load_b128 v[28:31], v32 offset:15840
	scratch_load_b128 v[18:21], off, off offset:1280 ; 16-byte Folded Reload
	s_waitcnt vmcnt(0) lgkmcnt(1)
	v_mul_f64 v[16:17], v[20:21], v[2:3]
	s_delay_alu instid0(VALU_DEP_1) | instskip(SKIP_1) | instid1(VALU_DEP_1)
	v_fma_f64 v[108:109], v[18:19], v[0:1], v[16:17]
	v_mul_f64 v[0:1], v[20:21], v[0:1]
	v_fma_f64 v[110:111], v[18:19], v[2:3], -v[0:1]
	ds_load_b128 v[0:3], v32 offset:21600
	ds_load_b128 v[16:19], v32 offset:23040
	s_waitcnt lgkmcnt(1)
	v_mul_f64 v[20:21], v[238:239], v[2:3]
	s_delay_alu instid0(VALU_DEP_1) | instskip(SKIP_1) | instid1(VALU_DEP_1)
	v_fma_f64 v[112:113], v[236:237], v[0:1], v[20:21]
	v_mul_f64 v[0:1], v[238:239], v[0:1]
	v_fma_f64 v[114:115], v[236:237], v[2:3], -v[0:1]
	ds_load_b128 v[0:3], v32 offset:25920
	ds_load_b128 v[36:39], v32 offset:24480
	scratch_load_b128 v[22:25], off, off offset:1104 ; 16-byte Folded Reload
	s_waitcnt vmcnt(0) lgkmcnt(1)
	v_mul_f64 v[20:21], v[24:25], v[2:3]
	s_delay_alu instid0(VALU_DEP_1) | instskip(SKIP_1) | instid1(VALU_DEP_2)
	v_fma_f64 v[116:117], v[22:23], v[0:1], v[20:21]
	v_mul_f64 v[0:1], v[24:25], v[0:1]
	v_add_f64 v[165:166], v[108:109], -v[116:117]
	s_delay_alu instid0(VALU_DEP_2)
	v_fma_f64 v[118:119], v[22:23], v[2:3], -v[0:1]
	ds_load_b128 v[0:3], v32 offset:30240
	ds_load_b128 v[20:23], v32 offset:31680
	scratch_load_b128 v[40:43], off, off offset:1152 ; 16-byte Folded Reload
	v_add_f64 v[161:162], v[110:111], -v[118:119]
	s_waitcnt vmcnt(0) lgkmcnt(1)
	v_mul_f64 v[24:25], v[42:43], v[2:3]
	s_delay_alu instid0(VALU_DEP_1) | instskip(SKIP_1) | instid1(VALU_DEP_2)
	v_fma_f64 v[120:121], v[40:41], v[0:1], v[24:25]
	v_mul_f64 v[0:1], v[42:43], v[0:1]
	v_add_f64 v[149:150], v[112:113], -v[120:121]
	s_delay_alu instid0(VALU_DEP_2)
	v_fma_f64 v[122:123], v[40:41], v[2:3], -v[0:1]
	ds_load_b128 v[0:3], v32 offset:34560
	ds_load_b128 v[44:47], v32 offset:33120
	scratch_load_b128 v[40:43], off, off offset:1088 ; 16-byte Folded Reload
	v_add_f64 v[154:155], v[114:115], -v[122:123]
	;; [unrolled: 12-line block ×3, first 2 shown]
	s_waitcnt vmcnt(0) lgkmcnt(1)
	v_mul_f64 v[33:34], v[42:43], v[2:3]
	s_delay_alu instid0(VALU_DEP_1) | instskip(SKIP_1) | instid1(VALU_DEP_2)
	v_fma_f64 v[128:129], v[40:41], v[0:1], v[33:34]
	v_mul_f64 v[0:1], v[42:43], v[0:1]
	v_add_f64 v[147:148], v[104:105], -v[128:129]
	s_delay_alu instid0(VALU_DEP_2) | instskip(SKIP_4) | instid1(VALU_DEP_1)
	v_fma_f64 v[130:131], v[40:41], v[2:3], -v[0:1]
	scratch_load_b128 v[40:43], off, off offset:1136 ; 16-byte Folded Reload
	v_add_f64 v[151:152], v[106:107], -v[130:131]
	s_waitcnt vmcnt(0)
	v_mul_f64 v[0:1], v[42:43], v[6:7]
	v_fma_f64 v[52:53], v[40:41], v[4:5], v[0:1]
	v_mul_f64 v[0:1], v[42:43], v[4:5]
	s_delay_alu instid0(VALU_DEP_1)
	v_fma_f64 v[54:55], v[40:41], v[6:7], -v[0:1]
	ds_load_b128 v[0:3], v32 offset:10080
	ds_load_b128 v[4:7], v32 offset:11520
	scratch_load_b128 v[40:43], off, off offset:1168 ; 16-byte Folded Reload
	s_waitcnt vmcnt(0) lgkmcnt(1)
	v_mul_f64 v[33:34], v[42:43], v[2:3]
	s_delay_alu instid0(VALU_DEP_1) | instskip(SKIP_1) | instid1(VALU_DEP_1)
	v_fma_f64 v[60:61], v[40:41], v[0:1], v[33:34]
	v_mul_f64 v[0:1], v[42:43], v[0:1]
	v_fma_f64 v[62:63], v[40:41], v[2:3], -v[0:1]
	scratch_load_b128 v[40:43], off, off offset:1184 ; 16-byte Folded Reload
	s_waitcnt vmcnt(0)
	v_mul_f64 v[0:1], v[42:43], v[14:15]
	s_delay_alu instid0(VALU_DEP_1) | instskip(SKIP_1) | instid1(VALU_DEP_1)
	v_fma_f64 v[58:59], v[40:41], v[12:13], v[0:1]
	v_mul_f64 v[0:1], v[42:43], v[12:13]
	v_fma_f64 v[56:57], v[40:41], v[14:15], -v[0:1]
	ds_load_b128 v[0:3], v32 offset:18720
	ds_load_b128 v[12:15], v32 offset:20160
	scratch_load_b128 v[40:43], off, off offset:1200 ; 16-byte Folded Reload
	s_waitcnt vmcnt(0) lgkmcnt(1)
	v_mul_f64 v[33:34], v[42:43], v[2:3]
	s_delay_alu instid0(VALU_DEP_1) | instskip(SKIP_1) | instid1(VALU_DEP_1)
	v_fma_f64 v[66:67], v[40:41], v[0:1], v[33:34]
	v_mul_f64 v[0:1], v[42:43], v[0:1]
	v_fma_f64 v[68:69], v[40:41], v[2:3], -v[0:1]
	scratch_load_b128 v[40:43], off, off offset:1232 ; 16-byte Folded Reload
	s_waitcnt vmcnt(0)
	v_mul_f64 v[0:1], v[42:43], v[18:19]
	s_delay_alu instid0(VALU_DEP_1) | instskip(SKIP_1) | instid1(VALU_DEP_1)
	v_fma_f64 v[70:71], v[40:41], v[16:17], v[0:1]
	v_mul_f64 v[0:1], v[42:43], v[16:17]
	v_fma_f64 v[64:65], v[40:41], v[18:19], -v[0:1]
	ds_load_b128 v[0:3], v32 offset:27360
	ds_load_b128 v[48:51], v32 offset:28800
	scratch_load_b128 v[40:43], off, off offset:1264 ; 16-byte Folded Reload
	s_waitcnt vmcnt(0) lgkmcnt(1)
	v_mul_f64 v[16:17], v[42:43], v[2:3]
	s_delay_alu instid0(VALU_DEP_1) | instskip(SKIP_2) | instid1(VALU_DEP_1)
	v_fma_f64 v[76:77], v[40:41], v[0:1], v[16:17]
	scratch_load_b128 v[16:19], off, off offset:1296 ; 16-byte Folded Reload
	v_mul_f64 v[0:1], v[42:43], v[0:1]
	v_fma_f64 v[78:79], v[40:41], v[2:3], -v[0:1]
	s_waitcnt vmcnt(0)
	v_mul_f64 v[0:1], v[18:19], v[22:23]
	s_delay_alu instid0(VALU_DEP_1) | instskip(SKIP_1) | instid1(VALU_DEP_1)
	v_fma_f64 v[74:75], v[16:17], v[20:21], v[0:1]
	v_mul_f64 v[0:1], v[18:19], v[20:21]
	v_fma_f64 v[72:73], v[16:17], v[22:23], -v[0:1]
	ds_load_b128 v[0:3], v32 offset:36000
	ds_load_b128 v[88:91], v32 offset:37440
	scratch_load_b128 v[18:21], off, off offset:1216 ; 16-byte Folded Reload
	s_waitcnt vmcnt(0) lgkmcnt(1)
	v_mul_f64 v[16:17], v[20:21], v[2:3]
	s_delay_alu instid0(VALU_DEP_1) | instskip(SKIP_1) | instid1(VALU_DEP_1)
	v_fma_f64 v[84:85], v[18:19], v[0:1], v[16:17]
	v_mul_f64 v[0:1], v[20:21], v[0:1]
	v_fma_f64 v[86:87], v[18:19], v[2:3], -v[0:1]
	scratch_load_b128 v[16:19], off, off offset:1248 ; 16-byte Folded Reload
	s_waitcnt vmcnt(0)
	v_mul_f64 v[0:1], v[18:19], v[26:27]
	s_delay_alu instid0(VALU_DEP_1) | instskip(SKIP_1) | instid1(VALU_DEP_1)
	v_fma_f64 v[82:83], v[16:17], v[24:25], v[0:1]
	v_mul_f64 v[0:1], v[18:19], v[24:25]
	v_fma_f64 v[80:81], v[16:17], v[26:27], -v[0:1]
	v_mul_f64 v[0:1], v[205:206], v[10:11]
	s_delay_alu instid0(VALU_DEP_1) | instskip(SKIP_1) | instid1(VALU_DEP_1)
	v_fma_f64 v[16:17], v[203:204], v[8:9], v[0:1]
	v_mul_f64 v[0:1], v[205:206], v[8:9]
	v_fma_f64 v[18:19], v[203:204], v[10:11], -v[0:1]
	v_mul_f64 v[0:1], v[226:227], v[6:7]
	s_delay_alu instid0(VALU_DEP_1) | instskip(SKIP_1) | instid1(VALU_DEP_1)
	v_fma_f64 v[24:25], v[224:225], v[4:5], v[0:1]
	v_mul_f64 v[0:1], v[226:227], v[4:5]
	v_fma_f64 v[26:27], v[224:225], v[6:7], -v[0:1]
	v_mul_f64 v[0:1], v[197:198], v[30:31]
	s_delay_alu instid0(VALU_DEP_1) | instskip(SKIP_1) | instid1(VALU_DEP_1)
	v_fma_f64 v[22:23], v[195:196], v[28:29], v[0:1]
	v_mul_f64 v[0:1], v[197:198], v[28:29]
	v_fma_f64 v[20:21], v[195:196], v[30:31], -v[0:1]
	v_mul_f64 v[0:1], v[222:223], v[14:15]
	s_delay_alu instid0(VALU_DEP_1) | instskip(SKIP_2) | instid1(VALU_DEP_2)
	v_fma_f64 v[30:31], v[220:221], v[12:13], v[0:1]
	v_mul_f64 v[0:1], v[222:223], v[12:13]
	v_add_f64 v[12:13], v[98:99], v[106:107]
	v_fma_f64 v[4:5], v[220:221], v[14:15], -v[0:1]
	v_mul_f64 v[0:1], v[187:188], v[38:39]
	s_delay_alu instid0(VALU_DEP_3) | instskip(NEXT) | instid1(VALU_DEP_2)
	v_add_f64 v[12:13], v[12:13], v[114:115]
	v_fma_f64 v[34:35], v[185:186], v[36:37], v[0:1]
	v_mul_f64 v[0:1], v[187:188], v[36:37]
	s_delay_alu instid0(VALU_DEP_3) | instskip(NEXT) | instid1(VALU_DEP_2)
	v_add_f64 v[12:13], v[12:13], v[122:123]
	v_fma_f64 v[28:29], v[185:186], v[38:39], -v[0:1]
	v_mul_f64 v[0:1], v[201:202], v[50:51]
	s_delay_alu instid0(VALU_DEP_1) | instskip(SKIP_1) | instid1(VALU_DEP_1)
	v_fma_f64 v[40:41], v[199:200], v[48:49], v[0:1]
	v_mul_f64 v[0:1], v[201:202], v[48:49]
	v_fma_f64 v[42:43], v[199:200], v[50:51], -v[0:1]
	v_mul_f64 v[0:1], v[183:184], v[46:47]
	s_delay_alu instid0(VALU_DEP_1) | instskip(SKIP_1) | instid1(VALU_DEP_1)
	v_fma_f64 v[38:39], v[181:182], v[44:45], v[0:1]
	v_mul_f64 v[0:1], v[183:184], v[44:45]
	v_fma_f64 v[36:37], v[181:182], v[46:47], -v[0:1]
	s_waitcnt lgkmcnt(0)
	v_mul_f64 v[0:1], v[191:192], v[90:91]
	s_delay_alu instid0(VALU_DEP_1) | instskip(SKIP_1) | instid1(VALU_DEP_1)
	v_fma_f64 v[44:45], v[189:190], v[88:89], v[0:1]
	v_mul_f64 v[0:1], v[191:192], v[88:89]
	v_fma_f64 v[46:47], v[189:190], v[90:91], -v[0:1]
	ds_load_b128 v[0:3], v32 offset:41760
	ds_load_b128 v[6:9], v32
	s_waitcnt lgkmcnt(1)
	v_mul_f64 v[10:11], v[230:231], v[2:3]
	s_delay_alu instid0(VALU_DEP_1) | instskip(SKIP_2) | instid1(VALU_DEP_2)
	v_fma_f64 v[50:51], v[228:229], v[0:1], v[10:11]
	v_mul_f64 v[0:1], v[230:231], v[0:1]
	v_add_f64 v[10:11], v[110:111], v[118:119]
	v_fma_f64 v[48:49], v[228:229], v[2:3], -v[0:1]
	v_add_f64 v[0:1], v[108:109], v[116:117]
	v_add_f64 v[2:3], v[100:101], v[124:125]
	s_waitcnt lgkmcnt(0)
	s_delay_alu instid0(VALU_DEP_4) | instskip(SKIP_1) | instid1(VALU_DEP_4)
	v_fma_f64 v[132:133], v[10:11], -0.5, v[8:9]
	v_add_f64 v[10:11], v[102:103], v[126:127]
	v_fma_f64 v[0:1], v[0:1], -0.5, v[6:7]
	s_delay_alu instid0(VALU_DEP_4) | instskip(SKIP_1) | instid1(VALU_DEP_4)
	v_fma_f64 v[2:3], v[2:3], -0.5, v[6:7]
	v_add_f64 v[6:7], v[6:7], v[100:101]
	v_fma_f64 v[134:135], v[10:11], -0.5, v[8:9]
	v_add_f64 v[8:9], v[8:9], v[102:103]
	v_add_f64 v[10:11], v[96:97], v[104:105]
	s_delay_alu instid0(VALU_DEP_4) | instskip(NEXT) | instid1(VALU_DEP_3)
	v_add_f64 v[6:7], v[6:7], v[108:109]
	v_add_f64 v[8:9], v[8:9], v[110:111]
	s_delay_alu instid0(VALU_DEP_3) | instskip(NEXT) | instid1(VALU_DEP_3)
	v_add_f64 v[10:11], v[10:11], v[112:113]
	v_add_f64 v[6:7], v[6:7], v[116:117]
	s_delay_alu instid0(VALU_DEP_3) | instskip(NEXT) | instid1(VALU_DEP_3)
	;; [unrolled: 3-line block ×3, first 2 shown]
	v_add_f64 v[6:7], v[6:7], v[124:125]
	v_add_f64 v[14:15], v[8:9], v[126:127]
	s_delay_alu instid0(VALU_DEP_3) | instskip(SKIP_2) | instid1(VALU_DEP_3)
	v_add_f64 v[8:9], v[10:11], v[128:129]
	v_add_f64 v[10:11], v[12:13], v[130:131]
	v_add_f64 v[12:13], v[124:125], -v[116:117]
	v_add_f64 v[88:89], v[6:7], v[8:9]
	v_add_f64 v[8:9], v[6:7], -v[8:9]
	v_add_f64 v[6:7], v[100:101], -v[108:109]
	v_add_f64 v[90:91], v[14:15], v[10:11]
	v_add_f64 v[10:11], v[14:15], -v[10:11]
	v_add_f64 v[14:15], v[126:127], -v[118:119]
	;; [unrolled: 1-line block ×6, first 2 shown]
	v_add_f64 v[6:7], v[6:7], v[12:13]
	v_add_f64 v[12:13], v[102:103], -v[110:111]
	v_add_f64 v[102:103], v[110:111], -v[102:103]
	;; [unrolled: 1-line block ×4, first 2 shown]
	v_add_f64 v[108:109], v[100:101], v[108:109]
	v_add_f64 v[126:127], v[60:61], -v[84:85]
	v_add_f64 v[136:137], v[12:13], v[14:15]
	v_add_f64 v[12:13], v[104:105], -v[112:113]
	v_add_f64 v[14:15], v[128:129], -v[120:121]
	v_add_f64 v[110:111], v[102:103], v[110:111]
	s_delay_alu instid0(VALU_DEP_2) | instskip(SKIP_2) | instid1(VALU_DEP_1)
	v_add_f64 v[138:139], v[12:13], v[14:15]
	v_add_f64 v[12:13], v[106:107], -v[114:115]
	v_add_f64 v[14:15], v[130:131], -v[122:123]
	v_add_f64 v[140:141], v[12:13], v[14:15]
	v_add_f64 v[12:13], v[112:113], v[120:121]
	v_add_f64 v[112:113], v[112:113], -v[104:105]
	v_add_f64 v[104:105], v[104:105], v[128:129]
	v_add_f64 v[128:129], v[66:67], -v[76:77]
	s_delay_alu instid0(VALU_DEP_4)
	v_fma_f64 v[143:144], v[12:13], -0.5, v[96:97]
	v_add_f64 v[12:13], v[114:115], v[122:123]
	v_add_f64 v[114:115], v[114:115], -v[106:107]
	v_add_f64 v[106:107], v[106:107], v[130:131]
	v_fma_f64 v[104:105], v[104:105], -0.5, v[96:97]
	v_add_f64 v[112:113], v[112:113], v[116:117]
	v_fma_f64 v[14:15], v[151:152], s[20:21], v[143:144]
	v_fma_f64 v[145:146], v[12:13], -0.5, v[98:99]
	v_add_f64 v[114:115], v[114:115], v[118:119]
	v_fma_f64 v[106:107], v[106:107], -0.5, v[98:99]
	v_fma_f64 v[98:99], v[154:155], s[18:19], v[104:105]
	v_fma_f64 v[104:105], v[154:155], s[20:21], v[104:105]
	;; [unrolled: 1-line block ×16, first 2 shown]
	s_delay_alu instid0(VALU_DEP_4) | instskip(SKIP_1) | instid1(VALU_DEP_4)
	v_fma_f64 v[106:107], v[114:115], s[14:15], v[106:107]
	v_fma_f64 v[114:115], v[151:152], s[18:19], v[143:144]
	v_mul_f64 v[92:93], v[12:13], s[16:17]
	v_mul_f64 v[12:13], v[12:13], s[22:23]
	;; [unrolled: 1-line block ×4, first 2 shown]
	v_fma_f64 v[114:115], v[154:155], s[12:13], v[114:115]
	v_fma_f64 v[156:157], v[14:15], s[22:23], v[92:93]
	;; [unrolled: 1-line block ×24, first 2 shown]
	v_add_f64 v[96:97], v[116:117], v[100:101]
	v_add_f64 v[100:101], v[116:117], -v[100:101]
	v_fma_f64 v[108:109], v[163:164], s[16:17], v[108:109]
	v_add_f64 v[98:99], v[118:119], v[102:103]
	v_add_f64 v[102:103], v[118:119], -v[102:103]
	v_add_f64 v[92:93], v[12:13], v[156:157]
	v_add_f64 v[94:95], v[167:168], v[14:15]
	v_add_f64 v[12:13], v[12:13], -v[156:157]
	v_add_f64 v[14:15], v[167:168], -v[14:15]
	v_fma_f64 v[110:111], v[110:111], s[14:15], v[108:109]
	v_mul_f64 v[108:109], v[106:107], s[20:21]
	v_mul_f64 v[106:107], v[106:107], s[24:25]
	s_delay_alu instid0(VALU_DEP_2) | instskip(NEXT) | instid1(VALU_DEP_2)
	v_fma_f64 v[108:109], v[104:105], s[24:25], v[108:109]
	v_fma_f64 v[112:113], v[104:105], s[18:19], v[106:107]
	s_delay_alu instid0(VALU_DEP_2) | instskip(SKIP_2) | instid1(VALU_DEP_4)
	v_add_f64 v[104:105], v[2:3], v[108:109]
	v_add_f64 v[108:109], v[2:3], -v[108:109]
	v_fma_f64 v[2:3], v[147:148], s[20:21], v[145:146]
	v_add_f64 v[106:107], v[110:111], v[112:113]
	v_add_f64 v[110:111], v[110:111], -v[112:113]
	v_fma_f64 v[112:113], v[163:164], s[20:21], v[132:133]
	s_delay_alu instid0(VALU_DEP_4) | instskip(NEXT) | instid1(VALU_DEP_2)
	v_fma_f64 v[2:3], v[149:150], s[16:17], v[2:3]
	v_fma_f64 v[112:113], v[165:166], s[16:17], v[112:113]
	s_delay_alu instid0(VALU_DEP_2) | instskip(NEXT) | instid1(VALU_DEP_2)
	v_fma_f64 v[2:3], v[140:141], s[14:15], v[2:3]
	v_fma_f64 v[6:7], v[136:137], s[14:15], v[112:113]
	;; [unrolled: 1-line block ×3, first 2 shown]
	s_delay_alu instid0(VALU_DEP_3) | instskip(SKIP_1) | instid1(VALU_DEP_2)
	v_mul_f64 v[114:115], v[2:3], s[16:17]
	v_mul_f64 v[2:3], v[2:3], s[26:27]
	v_fma_f64 v[116:117], v[112:113], s[26:27], v[114:115]
	s_delay_alu instid0(VALU_DEP_2) | instskip(NEXT) | instid1(VALU_DEP_2)
	v_fma_f64 v[2:3], v[112:113], s[12:13], v[2:3]
	v_add_f64 v[112:113], v[0:1], v[116:117]
	s_delay_alu instid0(VALU_DEP_2)
	v_add_f64 v[114:115], v[6:7], v[2:3]
	v_add_f64 v[118:119], v[6:7], -v[2:3]
	v_add_f64 v[6:7], v[66:67], v[76:77]
	v_add_f64 v[116:117], v[0:1], -v[116:117]
	ds_load_b128 v[120:123], v32 offset:1440
	ds_load_b128 v[0:3], v32 offset:2880
	s_waitcnt lgkmcnt(0)
	s_barrier
	buffer_gl0_inv
	ds_store_b128 v153, v[88:91]
	ds_store_b128 v153, v[8:11] offset:2400
	ds_store_b128 v153, v[92:95] offset:480
	;; [unrolled: 1-line block ×9, first 2 shown]
	v_add_f64 v[8:9], v[122:123], v[62:63]
	v_add_f64 v[10:11], v[52:53], v[58:59]
	;; [unrolled: 1-line block ×3, first 2 shown]
	v_add_f64 v[118:119], v[56:57], -v[80:81]
	v_add_f64 v[114:115], v[58:59], -v[82:83]
	v_add_f64 v[116:117], v[70:71], -v[74:75]
	v_fma_f64 v[14:15], v[6:7], -0.5, v[120:121]
	v_add_f64 v[6:7], v[60:61], v[84:85]
	v_add_f64 v[8:9], v[8:9], v[68:69]
	;; [unrolled: 1-line block ×4, first 2 shown]
	s_delay_alu instid0(VALU_DEP_4) | instskip(SKIP_4) | instid1(VALU_DEP_4)
	v_fma_f64 v[96:97], v[6:7], -0.5, v[120:121]
	v_add_f64 v[6:7], v[68:69], v[78:79]
	v_add_f64 v[8:9], v[8:9], v[78:79]
	;; [unrolled: 1-line block ×4, first 2 shown]
	v_fma_f64 v[98:99], v[6:7], -0.5, v[122:123]
	v_add_f64 v[6:7], v[62:63], v[86:87]
	v_add_f64 v[90:91], v[8:9], v[86:87]
	;; [unrolled: 1-line block ×4, first 2 shown]
	s_delay_alu instid0(VALU_DEP_4)
	v_fma_f64 v[100:101], v[6:7], -0.5, v[122:123]
	v_add_f64 v[6:7], v[120:121], v[60:61]
	v_add_f64 v[120:121], v[64:65], -v[72:73]
	v_add_f64 v[122:123], v[62:63], -v[86:87]
	v_add_f64 v[8:9], v[90:91], v[12:13]
	v_add_f64 v[12:13], v[90:91], -v[12:13]
	v_add_f64 v[90:91], v[84:85], -v[76:77]
	v_add_f64 v[6:7], v[6:7], v[66:67]
	s_delay_alu instid0(VALU_DEP_1) | instskip(NEXT) | instid1(VALU_DEP_1)
	v_add_f64 v[6:7], v[6:7], v[76:77]
	v_add_f64 v[88:89], v[6:7], v[84:85]
	s_delay_alu instid0(VALU_DEP_1)
	v_add_f64 v[6:7], v[88:89], v[10:11]
	v_add_f64 v[10:11], v[88:89], -v[10:11]
	v_add_f64 v[88:89], v[60:61], -v[66:67]
	;; [unrolled: 1-line block ×5, first 2 shown]
	s_delay_alu instid0(VALU_DEP_4)
	v_add_f64 v[102:103], v[88:89], v[90:91]
	v_add_f64 v[88:89], v[62:63], -v[68:69]
	v_add_f64 v[90:91], v[86:87], -v[78:79]
	v_add_f64 v[60:61], v[60:61], v[66:67]
	v_add_f64 v[62:63], v[68:69], -v[62:63]
	v_add_f64 v[68:69], v[78:79], -v[86:87]
	;; [unrolled: 1-line block ×4, first 2 shown]
	v_add_f64 v[104:105], v[88:89], v[90:91]
	v_add_f64 v[88:89], v[58:59], -v[70:71]
	v_add_f64 v[90:91], v[82:83], -v[74:75]
	v_add_f64 v[62:63], v[62:63], v[68:69]
	s_delay_alu instid0(VALU_DEP_2) | instskip(SKIP_2) | instid1(VALU_DEP_1)
	v_add_f64 v[106:107], v[88:89], v[90:91]
	v_add_f64 v[88:89], v[56:57], -v[64:65]
	v_add_f64 v[90:91], v[80:81], -v[72:73]
	v_add_f64 v[108:109], v[88:89], v[90:91]
	v_add_f64 v[88:89], v[70:71], v[74:75]
	v_add_f64 v[70:71], v[70:71], -v[58:59]
	v_add_f64 v[58:59], v[58:59], v[82:83]
	v_add_f64 v[74:75], v[74:75], -v[82:83]
	v_add_f64 v[82:83], v[28:29], -v[36:37]
	v_fma_f64 v[110:111], v[88:89], -0.5, v[52:53]
	v_add_f64 v[88:89], v[64:65], v[72:73]
	v_add_f64 v[64:65], v[64:65], -v[56:57]
	v_add_f64 v[56:57], v[56:57], v[80:81]
	v_add_f64 v[72:73], v[72:73], -v[80:81]
	v_fma_f64 v[66:67], v[58:59], -0.5, v[52:53]
	v_add_f64 v[68:69], v[70:71], v[74:75]
	v_add_f64 v[80:81], v[20:21], -v[48:49]
	v_fma_f64 v[90:91], v[118:119], s[20:21], v[110:111]
	v_fma_f64 v[112:113], v[88:89], -0.5, v[54:55]
	v_fma_f64 v[76:77], v[56:57], -0.5, v[54:55]
	v_add_f64 v[64:65], v[64:65], v[72:73]
	v_fma_f64 v[54:55], v[120:121], s[18:19], v[66:67]
	v_fma_f64 v[90:91], v[120:121], s[16:17], v[90:91]
	;; [unrolled: 1-line block ×4, first 2 shown]
	s_delay_alu instid0(VALU_DEP_4) | instskip(NEXT) | instid1(VALU_DEP_4)
	v_fma_f64 v[54:55], v[118:119], s[16:17], v[54:55]
	v_fma_f64 v[90:91], v[106:107], s[14:15], v[90:91]
	s_delay_alu instid0(VALU_DEP_4) | instskip(NEXT) | instid1(VALU_DEP_4)
	v_fma_f64 v[88:89], v[116:117], s[12:13], v[88:89]
	v_fma_f64 v[52:53], v[114:115], s[12:13], v[52:53]
	s_delay_alu instid0(VALU_DEP_4) | instskip(NEXT) | instid1(VALU_DEP_3)
	v_fma_f64 v[54:55], v[68:69], s[14:15], v[54:55]
	v_fma_f64 v[88:89], v[108:109], s[14:15], v[88:89]
	s_delay_alu instid0(VALU_DEP_3) | instskip(NEXT) | instid1(VALU_DEP_2)
	v_fma_f64 v[52:53], v[64:65], s[14:15], v[52:53]
	v_mul_f64 v[92:93], v[88:89], s[16:17]
	v_mul_f64 v[88:89], v[88:89], s[22:23]
	s_delay_alu instid0(VALU_DEP_3) | instskip(SKIP_1) | instid1(VALU_DEP_4)
	v_mul_f64 v[56:57], v[52:53], s[20:21]
	v_mul_f64 v[52:53], v[52:53], s[14:15]
	v_fma_f64 v[92:93], v[90:91], s[22:23], v[92:93]
	s_delay_alu instid0(VALU_DEP_4) | instskip(NEXT) | instid1(VALU_DEP_4)
	v_fma_f64 v[94:95], v[90:91], s[12:13], v[88:89]
	v_fma_f64 v[56:57], v[54:55], s[14:15], v[56:57]
	s_delay_alu instid0(VALU_DEP_4)
	v_fma_f64 v[58:59], v[54:55], s[18:19], v[52:53]
	v_fma_f64 v[52:53], v[124:125], s[18:19], v[96:97]
	v_fma_f64 v[54:55], v[128:129], s[20:21], v[100:101]
	v_fma_f64 v[88:89], v[122:123], s[20:21], v[14:15]
	v_fma_f64 v[90:91], v[126:127], s[18:19], v[98:99]
	v_fma_f64 v[14:15], v[122:123], s[18:19], v[14:15]
	v_fma_f64 v[52:53], v[122:123], s[16:17], v[52:53]
	v_fma_f64 v[54:55], v[126:127], s[12:13], v[54:55]
	v_fma_f64 v[88:89], v[124:125], s[16:17], v[88:89]
	v_fma_f64 v[90:91], v[128:129], s[12:13], v[90:91]
	v_fma_f64 v[14:15], v[124:125], s[12:13], v[14:15]
	v_fma_f64 v[70:71], v[60:61], s[14:15], v[52:53]
	v_fma_f64 v[72:73], v[62:63], s[14:15], v[54:55]
	v_fma_f64 v[130:131], v[102:103], s[14:15], v[88:89]
	v_fma_f64 v[132:133], v[104:105], s[14:15], v[90:91]
	v_fma_f64 v[14:15], v[102:103], s[14:15], v[14:15]
	v_add_f64 v[52:53], v[70:71], v[56:57]
	v_add_f64 v[56:57], v[70:71], -v[56:57]
	v_fma_f64 v[70:71], v[124:125], s[20:21], v[96:97]
	v_add_f64 v[54:55], v[72:73], v[58:59]
	v_add_f64 v[58:59], v[72:73], -v[58:59]
	v_add_f64 v[88:89], v[130:131], v[92:93]
	v_add_f64 v[90:91], v[132:133], v[94:95]
	v_add_f64 v[92:93], v[130:131], -v[92:93]
	v_add_f64 v[94:95], v[132:133], -v[94:95]
	v_fma_f64 v[70:71], v[122:123], s[12:13], v[70:71]
	s_delay_alu instid0(VALU_DEP_1) | instskip(SKIP_1) | instid1(VALU_DEP_1)
	v_fma_f64 v[70:71], v[60:61], s[14:15], v[70:71]
	v_fma_f64 v[60:61], v[128:129], s[18:19], v[100:101]
	v_fma_f64 v[60:61], v[126:127], s[16:17], v[60:61]
	s_delay_alu instid0(VALU_DEP_1) | instskip(SKIP_2) | instid1(VALU_DEP_2)
	v_fma_f64 v[72:73], v[62:63], s[14:15], v[60:61]
	v_fma_f64 v[60:61], v[116:117], s[18:19], v[76:77]
	;; [unrolled: 1-line block ×4, first 2 shown]
	s_delay_alu instid0(VALU_DEP_2) | instskip(NEXT) | instid1(VALU_DEP_2)
	v_fma_f64 v[62:63], v[118:119], s[12:13], v[62:63]
	v_fma_f64 v[60:61], v[64:65], s[14:15], v[60:61]
	s_delay_alu instid0(VALU_DEP_2) | instskip(SKIP_1) | instid1(VALU_DEP_3)
	v_fma_f64 v[62:63], v[68:69], s[14:15], v[62:63]
	v_fma_f64 v[68:69], v[114:115], s[20:21], v[112:113]
	v_mul_f64 v[64:65], v[60:61], s[20:21]
	v_mul_f64 v[60:61], v[60:61], s[24:25]
	s_delay_alu instid0(VALU_DEP_3) | instskip(NEXT) | instid1(VALU_DEP_3)
	v_fma_f64 v[68:69], v[116:117], s[16:17], v[68:69]
	v_fma_f64 v[64:65], v[62:63], s[24:25], v[64:65]
	s_delay_alu instid0(VALU_DEP_3) | instskip(NEXT) | instid1(VALU_DEP_3)
	v_fma_f64 v[66:67], v[62:63], s[18:19], v[60:61]
	v_fma_f64 v[68:69], v[108:109], s[14:15], v[68:69]
	s_delay_alu instid0(VALU_DEP_3) | instskip(NEXT) | instid1(VALU_DEP_3)
	v_add_f64 v[60:61], v[70:71], v[64:65]
	v_add_f64 v[62:63], v[72:73], v[66:67]
	v_add_f64 v[64:65], v[70:71], -v[64:65]
	v_add_f64 v[66:67], v[72:73], -v[66:67]
	v_fma_f64 v[70:71], v[126:127], s[20:21], v[98:99]
	v_fma_f64 v[72:73], v[118:119], s[18:19], v[110:111]
	s_delay_alu instid0(VALU_DEP_2) | instskip(NEXT) | instid1(VALU_DEP_2)
	v_fma_f64 v[70:71], v[128:129], s[16:17], v[70:71]
	v_fma_f64 v[72:73], v[120:121], s[12:13], v[72:73]
	s_delay_alu instid0(VALU_DEP_2) | instskip(NEXT) | instid1(VALU_DEP_2)
	v_fma_f64 v[74:75], v[104:105], s[14:15], v[70:71]
	v_fma_f64 v[70:71], v[106:107], s[14:15], v[72:73]
	v_mul_f64 v[72:73], v[68:69], s[16:17]
	v_mul_f64 v[68:69], v[68:69], s[26:27]
	s_delay_alu instid0(VALU_DEP_2) | instskip(NEXT) | instid1(VALU_DEP_2)
	v_fma_f64 v[72:73], v[70:71], s[26:27], v[72:73]
	v_fma_f64 v[76:77], v[70:71], s[12:13], v[68:69]
	s_delay_alu instid0(VALU_DEP_2) | instskip(NEXT) | instid1(VALU_DEP_2)
	v_add_f64 v[68:69], v[14:15], v[72:73]
	v_add_f64 v[70:71], v[74:75], v[76:77]
	v_add_f64 v[72:73], v[14:15], -v[72:73]
	v_add_f64 v[74:75], v[74:75], -v[76:77]
	ds_store_b128 v142, v[6:9]
	ds_store_b128 v142, v[88:91] offset:480
	ds_store_b128 v142, v[52:55] offset:960
	ds_store_b128 v142, v[60:63] offset:1440
	ds_store_b128 v142, v[68:71] offset:1920
	ds_store_b128 v142, v[10:13] offset:2400
	ds_store_b128 v142, v[92:95] offset:2880
	ds_store_b128 v142, v[56:59] offset:3360
	ds_store_b128 v142, v[64:67] offset:3840
	ds_store_b128 v142, v[72:75] offset:4320
	v_add_f64 v[6:7], v[30:31], v[40:41]
	v_add_f64 v[8:9], v[18:19], v[20:21]
	v_add_f64 v[76:77], v[22:23], -v[50:51]
	v_add_f64 v[88:89], v[24:25], -v[44:45]
	;; [unrolled: 1-line block ×3, first 2 shown]
	v_fma_f64 v[56:57], v[6:7], -0.5, v[0:1]
	v_add_f64 v[6:7], v[24:25], v[44:45]
	v_add_f64 v[8:9], v[8:9], v[28:29]
	s_delay_alu instid0(VALU_DEP_2) | instskip(SKIP_2) | instid1(VALU_DEP_4)
	v_fma_f64 v[58:59], v[6:7], -0.5, v[0:1]
	v_add_f64 v[6:7], v[4:5], v[42:43]
	v_add_f64 v[0:1], v[0:1], v[24:25]
	;; [unrolled: 1-line block ×3, first 2 shown]
	s_delay_alu instid0(VALU_DEP_3) | instskip(SKIP_1) | instid1(VALU_DEP_4)
	v_fma_f64 v[60:61], v[6:7], -0.5, v[2:3]
	v_add_f64 v[6:7], v[26:27], v[46:47]
	v_add_f64 v[0:1], v[0:1], v[30:31]
	s_delay_alu instid0(VALU_DEP_4) | instskip(NEXT) | instid1(VALU_DEP_3)
	v_add_f64 v[8:9], v[8:9], v[48:49]
	v_fma_f64 v[62:63], v[6:7], -0.5, v[2:3]
	v_add_f64 v[2:3], v[2:3], v[26:27]
	v_add_f64 v[6:7], v[16:17], v[22:23]
	;; [unrolled: 1-line block ×3, first 2 shown]
	s_delay_alu instid0(VALU_DEP_3) | instskip(NEXT) | instid1(VALU_DEP_3)
	v_add_f64 v[2:3], v[2:3], v[4:5]
	v_add_f64 v[6:7], v[6:7], v[34:35]
	s_delay_alu instid0(VALU_DEP_3) | instskip(NEXT) | instid1(VALU_DEP_3)
	v_add_f64 v[10:11], v[0:1], v[44:45]
	v_add_f64 v[2:3], v[2:3], v[42:43]
	s_delay_alu instid0(VALU_DEP_3) | instskip(NEXT) | instid1(VALU_DEP_2)
	v_add_f64 v[6:7], v[6:7], v[38:39]
	v_add_f64 v[12:13], v[2:3], v[46:47]
	s_delay_alu instid0(VALU_DEP_2) | instskip(NEXT) | instid1(VALU_DEP_2)
	v_add_f64 v[6:7], v[6:7], v[50:51]
	v_add_f64 v[2:3], v[12:13], v[8:9]
	s_delay_alu instid0(VALU_DEP_2) | instskip(SKIP_4) | instid1(VALU_DEP_1)
	v_add_f64 v[0:1], v[10:11], v[6:7]
	v_add_f64 v[6:7], v[10:11], -v[6:7]
	v_add_f64 v[8:9], v[12:13], -v[8:9]
	;; [unrolled: 1-line block ×4, first 2 shown]
	v_add_f64 v[64:65], v[10:11], v[12:13]
	v_add_f64 v[10:11], v[26:27], -v[4:5]
	v_add_f64 v[12:13], v[46:47], -v[42:43]
	;; [unrolled: 1-line block ×4, first 2 shown]
	s_delay_alu instid0(VALU_DEP_3) | instskip(SKIP_2) | instid1(VALU_DEP_4)
	v_add_f64 v[66:67], v[10:11], v[12:13]
	v_add_f64 v[10:11], v[22:23], -v[34:35]
	v_add_f64 v[12:13], v[50:51], -v[38:39]
	v_add_f64 v[4:5], v[4:5], v[26:27]
	s_delay_alu instid0(VALU_DEP_2) | instskip(SKIP_2) | instid1(VALU_DEP_1)
	v_add_f64 v[68:69], v[10:11], v[12:13]
	v_add_f64 v[10:11], v[20:21], -v[28:29]
	v_add_f64 v[12:13], v[48:49], -v[36:37]
	v_add_f64 v[70:71], v[10:11], v[12:13]
	v_add_f64 v[10:11], v[34:35], v[38:39]
	s_delay_alu instid0(VALU_DEP_1) | instskip(SKIP_3) | instid1(VALU_DEP_4)
	v_fma_f64 v[72:73], v[10:11], -0.5, v[16:17]
	v_add_f64 v[10:11], v[28:29], v[36:37]
	v_add_f64 v[28:29], v[28:29], -v[20:21]
	v_add_f64 v[20:21], v[20:21], v[48:49]
	v_fma_f64 v[12:13], v[80:81], s[20:21], v[72:73]
	s_delay_alu instid0(VALU_DEP_4) | instskip(NEXT) | instid1(VALU_DEP_2)
	v_fma_f64 v[74:75], v[10:11], -0.5, v[18:19]
	v_fma_f64 v[12:13], v[82:83], s[16:17], v[12:13]
	s_delay_alu instid0(VALU_DEP_2) | instskip(NEXT) | instid1(VALU_DEP_2)
	v_fma_f64 v[10:11], v[76:77], s[18:19], v[74:75]
	v_fma_f64 v[12:13], v[68:69], s[14:15], v[12:13]
	s_delay_alu instid0(VALU_DEP_2) | instskip(NEXT) | instid1(VALU_DEP_1)
	v_fma_f64 v[10:11], v[78:79], s[12:13], v[10:11]
	v_fma_f64 v[10:11], v[70:71], s[14:15], v[10:11]
	s_delay_alu instid0(VALU_DEP_1) | instskip(SKIP_1) | instid1(VALU_DEP_2)
	v_mul_f64 v[14:15], v[10:11], s[16:17]
	v_mul_f64 v[10:11], v[10:11], s[22:23]
	v_fma_f64 v[14:15], v[12:13], s[22:23], v[14:15]
	s_delay_alu instid0(VALU_DEP_2) | instskip(SKIP_2) | instid1(VALU_DEP_2)
	v_fma_f64 v[54:55], v[12:13], s[12:13], v[10:11]
	v_fma_f64 v[10:11], v[84:85], s[20:21], v[56:57]
	;; [unrolled: 1-line block ×4, first 2 shown]
	s_delay_alu instid0(VALU_DEP_2) | instskip(NEXT) | instid1(VALU_DEP_2)
	v_fma_f64 v[12:13], v[90:91], s[12:13], v[12:13]
	v_fma_f64 v[52:53], v[64:65], s[14:15], v[10:11]
	s_delay_alu instid0(VALU_DEP_2) | instskip(NEXT) | instid1(VALU_DEP_2)
	v_fma_f64 v[92:93], v[66:67], s[14:15], v[12:13]
	v_add_f64 v[10:11], v[52:53], v[14:15]
	v_add_f64 v[52:53], v[52:53], -v[14:15]
	v_add_f64 v[14:15], v[30:31], -v[24:25]
	;; [unrolled: 1-line block ×4, first 2 shown]
	v_add_f64 v[22:23], v[22:23], v[50:51]
	v_add_f64 v[33:34], v[38:39], -v[50:51]
	v_add_f64 v[35:36], v[36:37], -v[48:49]
	v_fma_f64 v[37:38], v[20:21], -0.5, v[18:19]
	v_add_f64 v[12:13], v[92:93], v[54:55]
	v_add_f64 v[54:55], v[92:93], -v[54:55]
	v_add_f64 v[24:25], v[14:15], v[24:25]
	v_fma_f64 v[22:23], v[22:23], -0.5, v[16:17]
	v_add_f64 v[26:27], v[30:31], v[33:34]
	v_add_f64 v[28:29], v[28:29], v[35:36]
	v_fma_f64 v[14:15], v[78:79], s[20:21], v[37:38]
	v_fma_f64 v[35:36], v[80:81], s[18:19], v[72:73]
	;; [unrolled: 1-line block ×4, first 2 shown]
	s_delay_alu instid0(VALU_DEP_4) | instskip(NEXT) | instid1(VALU_DEP_4)
	v_fma_f64 v[14:15], v[76:77], s[12:13], v[14:15]
	v_fma_f64 v[35:36], v[82:83], s[12:13], v[35:36]
	s_delay_alu instid0(VALU_DEP_4) | instskip(NEXT) | instid1(VALU_DEP_4)
	v_fma_f64 v[16:17], v[80:81], s[16:17], v[16:17]
	v_fma_f64 v[22:23], v[80:81], s[12:13], v[22:23]
	s_delay_alu instid0(VALU_DEP_4) | instskip(NEXT) | instid1(VALU_DEP_3)
	v_fma_f64 v[14:15], v[28:29], s[14:15], v[14:15]
	v_fma_f64 v[16:17], v[26:27], s[14:15], v[16:17]
	s_delay_alu instid0(VALU_DEP_3) | instskip(NEXT) | instid1(VALU_DEP_3)
	v_fma_f64 v[22:23], v[26:27], s[14:15], v[22:23]
	v_mul_f64 v[18:19], v[14:15], s[20:21]
	v_mul_f64 v[14:15], v[14:15], s[14:15]
	s_delay_alu instid0(VALU_DEP_2) | instskip(NEXT) | instid1(VALU_DEP_2)
	v_fma_f64 v[18:19], v[16:17], s[14:15], v[18:19]
	v_fma_f64 v[20:21], v[16:17], s[18:19], v[14:15]
	;; [unrolled: 1-line block ×4, first 2 shown]
	s_delay_alu instid0(VALU_DEP_2) | instskip(NEXT) | instid1(VALU_DEP_2)
	v_fma_f64 v[14:15], v[84:85], s[16:17], v[14:15]
	v_fma_f64 v[16:17], v[88:89], s[12:13], v[16:17]
	s_delay_alu instid0(VALU_DEP_2) | instskip(NEXT) | instid1(VALU_DEP_2)
	v_fma_f64 v[30:31], v[24:25], s[14:15], v[14:15]
	v_fma_f64 v[33:34], v[4:5], s[14:15], v[16:17]
	s_delay_alu instid0(VALU_DEP_2) | instskip(SKIP_2) | instid1(VALU_DEP_4)
	v_add_f64 v[14:15], v[30:31], v[18:19]
	v_add_f64 v[18:19], v[30:31], -v[18:19]
	v_fma_f64 v[30:31], v[86:87], s[20:21], v[58:59]
	v_add_f64 v[16:17], v[33:34], v[20:21]
	v_add_f64 v[20:21], v[33:34], -v[20:21]
	v_fma_f64 v[33:34], v[88:89], s[20:21], v[60:61]
	s_delay_alu instid0(VALU_DEP_4) | instskip(NEXT) | instid1(VALU_DEP_2)
	v_fma_f64 v[30:31], v[84:85], s[12:13], v[30:31]
	v_fma_f64 v[33:34], v[90:91], s[16:17], v[33:34]
	s_delay_alu instid0(VALU_DEP_2) | instskip(SKIP_1) | instid1(VALU_DEP_3)
	v_fma_f64 v[30:31], v[24:25], s[14:15], v[30:31]
	v_fma_f64 v[24:25], v[90:91], s[18:19], v[62:63]
	;; [unrolled: 1-line block ×4, first 2 shown]
	s_delay_alu instid0(VALU_DEP_3) | instskip(NEXT) | instid1(VALU_DEP_1)
	v_fma_f64 v[24:25], v[88:89], s[16:17], v[24:25]
	v_fma_f64 v[4:5], v[4:5], s[14:15], v[24:25]
	;; [unrolled: 1-line block ×3, first 2 shown]
	s_delay_alu instid0(VALU_DEP_1) | instskip(NEXT) | instid1(VALU_DEP_1)
	v_fma_f64 v[24:25], v[76:77], s[16:17], v[24:25]
	v_fma_f64 v[24:25], v[28:29], s[14:15], v[24:25]
	s_delay_alu instid0(VALU_DEP_1) | instskip(SKIP_1) | instid1(VALU_DEP_2)
	v_mul_f64 v[26:27], v[24:25], s[20:21]
	v_mul_f64 v[24:25], v[24:25], s[24:25]
	v_fma_f64 v[26:27], v[22:23], s[24:25], v[26:27]
	s_delay_alu instid0(VALU_DEP_2) | instskip(NEXT) | instid1(VALU_DEP_2)
	v_fma_f64 v[28:29], v[22:23], s[18:19], v[24:25]
	v_add_f64 v[22:23], v[30:31], v[26:27]
	s_delay_alu instid0(VALU_DEP_2) | instskip(SKIP_4) | instid1(VALU_DEP_3)
	v_add_f64 v[24:25], v[4:5], v[28:29]
	v_add_f64 v[28:29], v[4:5], -v[28:29]
	v_fma_f64 v[4:5], v[76:77], s[20:21], v[74:75]
	v_add_f64 v[26:27], v[30:31], -v[26:27]
	v_fma_f64 v[30:31], v[84:85], s[18:19], v[56:57]
	v_fma_f64 v[4:5], v[78:79], s[16:17], v[4:5]
	s_delay_alu instid0(VALU_DEP_2) | instskip(NEXT) | instid1(VALU_DEP_2)
	v_fma_f64 v[30:31], v[86:87], s[12:13], v[30:31]
	v_fma_f64 v[4:5], v[70:71], s[14:15], v[4:5]
	s_delay_alu instid0(VALU_DEP_2) | instskip(NEXT) | instid1(VALU_DEP_2)
	v_fma_f64 v[30:31], v[64:65], s[14:15], v[30:31]
	v_mul_f64 v[35:36], v[4:5], s[16:17]
	v_mul_f64 v[4:5], v[4:5], s[26:27]
	s_delay_alu instid0(VALU_DEP_2) | instskip(NEXT) | instid1(VALU_DEP_2)
	v_fma_f64 v[37:38], v[33:34], s[26:27], v[35:36]
	v_fma_f64 v[4:5], v[33:34], s[12:13], v[4:5]
	s_delay_alu instid0(VALU_DEP_2) | instskip(NEXT) | instid1(VALU_DEP_2)
	v_add_f64 v[33:34], v[30:31], v[37:38]
	v_add_f64 v[35:36], v[39:40], v[4:5]
	v_add_f64 v[37:38], v[30:31], -v[37:38]
	v_add_f64 v[39:40], v[39:40], -v[4:5]
	ds_store_b128 v160, v[0:3]
	ds_store_b128 v160, v[10:13] offset:480
	ds_store_b128 v160, v[14:17] offset:960
	;; [unrolled: 1-line block ×9, first 2 shown]
	s_waitcnt lgkmcnt(0)
	s_barrier
	buffer_gl0_inv
	ds_load_b128 v[5:8], v32 offset:14400
	ds_load_b128 v[0:3], v32 offset:12960
	scratch_load_b128 v[11:14], off, off offset:528 ; 16-byte Folded Reload
	s_waitcnt vmcnt(0) lgkmcnt(1)
	v_mul_f64 v[9:10], v[13:14], v[7:8]
	s_delay_alu instid0(VALU_DEP_1) | instskip(SKIP_1) | instid1(VALU_DEP_1)
	v_fma_f64 v[20:21], v[11:12], v[5:6], v[9:10]
	v_mul_f64 v[4:5], v[13:14], v[5:6]
	v_fma_f64 v[22:23], v[11:12], v[7:8], -v[4:5]
	ds_load_b128 v[4:7], v32 offset:28800
	ds_load_b128 v[8:11], v32 offset:27360
	scratch_load_b128 v[14:17], off, off offset:512 ; 16-byte Folded Reload
	s_waitcnt vmcnt(0) lgkmcnt(1)
	v_mul_f64 v[12:13], v[16:17], v[6:7]
	s_delay_alu instid0(VALU_DEP_1) | instskip(SKIP_1) | instid1(VALU_DEP_1)
	v_fma_f64 v[24:25], v[14:15], v[4:5], v[12:13]
	v_mul_f64 v[4:5], v[16:17], v[4:5]
	v_fma_f64 v[26:27], v[14:15], v[6:7], -v[4:5]
	ds_load_b128 v[4:7], v32 offset:15840
	ds_load_b128 v[12:15], v32 offset:17280
	scratch_load_b128 v[33:36], off, off offset:544 ; 16-byte Folded Reload
	s_waitcnt vmcnt(0) lgkmcnt(1)
	v_mul_f64 v[16:17], v[35:36], v[6:7]
	s_delay_alu instid0(VALU_DEP_1) | instskip(SKIP_1) | instid1(VALU_DEP_1)
	v_fma_f64 v[28:29], v[33:34], v[4:5], v[16:17]
	v_mul_f64 v[4:5], v[35:36], v[4:5]
	v_fma_f64 v[30:31], v[33:34], v[6:7], -v[4:5]
	ds_load_b128 v[4:7], v32 offset:30240
	ds_load_b128 v[16:19], v32 offset:31680
	s_clause 0x1
	scratch_load_b128 v[35:38], off, off offset:560
	scratch_load_b128 v[39:42], off, off offset:576
	s_waitcnt vmcnt(1) lgkmcnt(1)
	v_mul_f64 v[33:34], v[37:38], v[6:7]
	s_delay_alu instid0(VALU_DEP_1) | instskip(SKIP_1) | instid1(VALU_DEP_1)
	v_fma_f64 v[33:34], v[35:36], v[4:5], v[33:34]
	v_mul_f64 v[4:5], v[37:38], v[4:5]
	v_fma_f64 v[35:36], v[35:36], v[6:7], -v[4:5]
	s_waitcnt vmcnt(0)
	v_mul_f64 v[4:5], v[41:42], v[14:15]
	s_delay_alu instid0(VALU_DEP_1) | instskip(SKIP_1) | instid1(VALU_DEP_1)
	v_fma_f64 v[37:38], v[39:40], v[12:13], v[4:5]
	v_mul_f64 v[4:5], v[41:42], v[12:13]
	v_fma_f64 v[39:40], v[39:40], v[14:15], -v[4:5]
	scratch_load_b128 v[12:15], off, off offset:592 ; 16-byte Folded Reload
	s_waitcnt vmcnt(0) lgkmcnt(0)
	v_mul_f64 v[4:5], v[14:15], v[18:19]
	s_delay_alu instid0(VALU_DEP_1) | instskip(SKIP_1) | instid1(VALU_DEP_1)
	v_fma_f64 v[41:42], v[12:13], v[16:17], v[4:5]
	v_mul_f64 v[4:5], v[14:15], v[16:17]
	v_fma_f64 v[43:44], v[12:13], v[18:19], -v[4:5]
	ds_load_b128 v[4:7], v32 offset:18720
	ds_load_b128 v[12:15], v32 offset:20160
	scratch_load_b128 v[45:48], off, off offset:656 ; 16-byte Folded Reload
	s_waitcnt vmcnt(0) lgkmcnt(1)
	v_mul_f64 v[16:17], v[47:48], v[6:7]
	s_delay_alu instid0(VALU_DEP_1) | instskip(SKIP_1) | instid1(VALU_DEP_1)
	v_fma_f64 v[49:50], v[45:46], v[4:5], v[16:17]
	v_mul_f64 v[4:5], v[47:48], v[4:5]
	v_fma_f64 v[51:52], v[45:46], v[6:7], -v[4:5]
	ds_load_b128 v[4:7], v32 offset:33120
	ds_load_b128 v[16:19], v32 offset:34560
	scratch_load_b128 v[55:58], off, off offset:608 ; 16-byte Folded Reload
	s_waitcnt vmcnt(0) lgkmcnt(1)
	v_mul_f64 v[45:46], v[57:58], v[6:7]
	s_delay_alu instid0(VALU_DEP_1) | instskip(SKIP_2) | instid1(VALU_DEP_1)
	v_fma_f64 v[53:54], v[55:56], v[4:5], v[45:46]
	scratch_load_b128 v[45:48], off, off offset:624 ; 16-byte Folded Reload
	v_mul_f64 v[4:5], v[57:58], v[4:5]
	v_fma_f64 v[55:56], v[55:56], v[6:7], -v[4:5]
	s_waitcnt vmcnt(0)
	v_mul_f64 v[4:5], v[47:48], v[14:15]
	s_delay_alu instid0(VALU_DEP_1) | instskip(SKIP_1) | instid1(VALU_DEP_1)
	v_fma_f64 v[73:74], v[45:46], v[12:13], v[4:5]
	v_mul_f64 v[4:5], v[47:48], v[12:13]
	v_fma_f64 v[75:76], v[45:46], v[14:15], -v[4:5]
	scratch_load_b128 v[12:15], off, off offset:640 ; 16-byte Folded Reload
	s_waitcnt vmcnt(0) lgkmcnt(0)
	v_mul_f64 v[4:5], v[14:15], v[18:19]
	s_delay_alu instid0(VALU_DEP_1) | instskip(SKIP_1) | instid1(VALU_DEP_1)
	v_fma_f64 v[77:78], v[12:13], v[16:17], v[4:5]
	v_mul_f64 v[4:5], v[14:15], v[16:17]
	v_fma_f64 v[79:80], v[12:13], v[18:19], -v[4:5]
	ds_load_b128 v[4:7], v32 offset:21600
	ds_load_b128 v[12:15], v32 offset:23040
	scratch_load_b128 v[45:48], off, off offset:720 ; 16-byte Folded Reload
	s_waitcnt vmcnt(0) lgkmcnt(1)
	v_mul_f64 v[16:17], v[47:48], v[6:7]
	s_delay_alu instid0(VALU_DEP_1) | instskip(SKIP_1) | instid1(VALU_DEP_1)
	v_fma_f64 v[81:82], v[45:46], v[4:5], v[16:17]
	v_mul_f64 v[4:5], v[47:48], v[4:5]
	v_fma_f64 v[83:84], v[45:46], v[6:7], -v[4:5]
	ds_load_b128 v[4:7], v32 offset:36000
	ds_load_b128 v[16:19], v32 offset:37440
	scratch_load_b128 v[57:60], off, off offset:704 ; 16-byte Folded Reload
	s_waitcnt vmcnt(0) lgkmcnt(1)
	v_mul_f64 v[45:46], v[59:60], v[6:7]
	s_delay_alu instid0(VALU_DEP_1) | instskip(SKIP_2) | instid1(VALU_DEP_1)
	v_fma_f64 v[85:86], v[57:58], v[4:5], v[45:46]
	scratch_load_b128 v[45:48], off, off offset:816 ; 16-byte Folded Reload
	v_mul_f64 v[4:5], v[59:60], v[4:5]
	v_fma_f64 v[87:88], v[57:58], v[6:7], -v[4:5]
	s_waitcnt vmcnt(0)
	v_mul_f64 v[4:5], v[47:48], v[14:15]
	s_delay_alu instid0(VALU_DEP_1) | instskip(SKIP_1) | instid1(VALU_DEP_1)
	v_fma_f64 v[89:90], v[45:46], v[12:13], v[4:5]
	v_mul_f64 v[4:5], v[47:48], v[12:13]
	v_fma_f64 v[91:92], v[45:46], v[14:15], -v[4:5]
	scratch_load_b128 v[12:15], off, off offset:800 ; 16-byte Folded Reload
	s_waitcnt vmcnt(0) lgkmcnt(0)
	v_mul_f64 v[4:5], v[14:15], v[18:19]
	s_delay_alu instid0(VALU_DEP_1) | instskip(SKIP_1) | instid1(VALU_DEP_1)
	v_fma_f64 v[93:94], v[12:13], v[16:17], v[4:5]
	v_mul_f64 v[4:5], v[14:15], v[16:17]
	v_fma_f64 v[95:96], v[12:13], v[18:19], -v[4:5]
	ds_load_b128 v[4:7], v32 offset:24480
	ds_load_b128 v[12:15], v32 offset:25920
	scratch_load_b128 v[45:48], off, off offset:912 ; 16-byte Folded Reload
	s_waitcnt vmcnt(0) lgkmcnt(1)
	v_mul_f64 v[16:17], v[47:48], v[6:7]
	s_delay_alu instid0(VALU_DEP_1) | instskip(SKIP_1) | instid1(VALU_DEP_1)
	v_fma_f64 v[97:98], v[45:46], v[4:5], v[16:17]
	v_mul_f64 v[4:5], v[47:48], v[4:5]
	v_fma_f64 v[99:100], v[45:46], v[6:7], -v[4:5]
	ds_load_b128 v[4:7], v32 offset:38880
	ds_load_b128 v[16:19], v32 offset:40320
	scratch_load_b128 v[57:60], off, off offset:896 ; 16-byte Folded Reload
	s_waitcnt vmcnt(0) lgkmcnt(1)
	v_mul_f64 v[45:46], v[59:60], v[6:7]
	s_delay_alu instid0(VALU_DEP_1) | instskip(SKIP_3) | instid1(VALU_DEP_2)
	v_fma_f64 v[101:102], v[57:58], v[4:5], v[45:46]
	scratch_load_b128 v[45:48], off, off offset:1008 ; 16-byte Folded Reload
	v_mul_f64 v[4:5], v[59:60], v[4:5]
	v_add_f64 v[59:60], v[51:52], v[55:56]
	v_fma_f64 v[103:104], v[57:58], v[6:7], -v[4:5]
	v_add_f64 v[57:58], v[49:50], v[53:54]
	s_waitcnt vmcnt(0)
	v_mul_f64 v[4:5], v[47:48], v[14:15]
	s_delay_alu instid0(VALU_DEP_1) | instskip(SKIP_1) | instid1(VALU_DEP_1)
	v_fma_f64 v[105:106], v[45:46], v[12:13], v[4:5]
	v_mul_f64 v[4:5], v[47:48], v[12:13]
	v_fma_f64 v[107:108], v[45:46], v[14:15], -v[4:5]
	scratch_load_b128 v[12:15], off, off offset:992 ; 16-byte Folded Reload
	s_waitcnt vmcnt(0) lgkmcnt(0)
	v_mul_f64 v[4:5], v[14:15], v[18:19]
	s_delay_alu instid0(VALU_DEP_1) | instskip(SKIP_1) | instid1(VALU_DEP_1)
	v_fma_f64 v[109:110], v[12:13], v[16:17], v[4:5]
	v_mul_f64 v[4:5], v[14:15], v[16:17]
	v_fma_f64 v[111:112], v[12:13], v[18:19], -v[4:5]
	v_mul_f64 v[4:5], v[250:251], v[10:11]
	s_delay_alu instid0(VALU_DEP_1) | instskip(SKIP_1) | instid1(VALU_DEP_1)
	v_fma_f64 v[113:114], v[248:249], v[8:9], v[4:5]
	v_mul_f64 v[4:5], v[250:251], v[8:9]
	v_fma_f64 v[115:116], v[248:249], v[10:11], -v[4:5]
	ds_load_b128 v[4:7], v32 offset:41760
	ds_load_b128 v[8:11], v32
	scratch_load_b128 v[14:17], off, off offset:1056 ; 16-byte Folded Reload
	s_waitcnt vmcnt(0) lgkmcnt(1)
	v_mul_f64 v[12:13], v[16:17], v[6:7]
	s_delay_alu instid0(VALU_DEP_1) | instskip(SKIP_2) | instid1(VALU_DEP_2)
	v_fma_f64 v[117:118], v[14:15], v[4:5], v[12:13]
	v_mul_f64 v[4:5], v[16:17], v[4:5]
	v_add_f64 v[16:17], v[20:21], -v[24:25]
	v_fma_f64 v[119:120], v[14:15], v[6:7], -v[4:5]
	v_add_f64 v[4:5], v[20:21], v[24:25]
	s_waitcnt lgkmcnt(0)
	s_delay_alu instid0(VALU_DEP_1) | instskip(SKIP_2) | instid1(VALU_DEP_2)
	v_fma_f64 v[12:13], v[4:5], -0.5, v[8:9]
	v_add_f64 v[4:5], v[22:23], v[26:27]
	v_add_f64 v[8:9], v[8:9], v[20:21]
	v_fma_f64 v[14:15], v[4:5], -0.5, v[10:11]
	v_add_f64 v[4:5], v[10:11], v[22:23]
	v_add_f64 v[10:11], v[22:23], -v[26:27]
	s_delay_alu instid0(VALU_DEP_2) | instskip(SKIP_2) | instid1(VALU_DEP_4)
	v_add_f64 v[6:7], v[4:5], v[26:27]
	v_add_f64 v[4:5], v[8:9], v[24:25]
	;; [unrolled: 1-line block ×3, first 2 shown]
	v_fma_f64 v[8:9], v[10:11], s[2:3], v[12:13]
	v_fma_f64 v[12:13], v[10:11], s[8:9], v[12:13]
	;; [unrolled: 1-line block ×4, first 2 shown]
	ds_load_b128 v[16:19], v32 offset:1440
	ds_load_b128 v[20:23], v32 offset:2880
	s_waitcnt lgkmcnt(1)
	v_fma_f64 v[26:27], v[24:25], -0.5, v[16:17]
	v_add_f64 v[24:25], v[30:31], v[35:36]
	v_add_f64 v[16:17], v[16:17], v[28:29]
	s_delay_alu instid0(VALU_DEP_2) | instskip(SKIP_2) | instid1(VALU_DEP_4)
	v_fma_f64 v[45:46], v[24:25], -0.5, v[18:19]
	v_add_f64 v[18:19], v[18:19], v[30:31]
	v_add_f64 v[30:31], v[30:31], -v[35:36]
	v_add_f64 v[16:17], v[16:17], v[33:34]
	v_add_f64 v[33:34], v[28:29], -v[33:34]
	s_delay_alu instid0(VALU_DEP_4) | instskip(NEXT) | instid1(VALU_DEP_4)
	v_add_f64 v[18:19], v[18:19], v[35:36]
	v_fma_f64 v[24:25], v[30:31], s[2:3], v[26:27]
	v_fma_f64 v[28:29], v[30:31], s[8:9], v[26:27]
	s_delay_alu instid0(VALU_DEP_4) | instskip(SKIP_3) | instid1(VALU_DEP_1)
	v_fma_f64 v[26:27], v[33:34], s[8:9], v[45:46]
	v_fma_f64 v[30:31], v[33:34], s[2:3], v[45:46]
	v_add_f64 v[33:34], v[37:38], v[41:42]
	s_waitcnt lgkmcnt(0)
	v_fma_f64 v[35:36], v[33:34], -0.5, v[20:21]
	v_add_f64 v[33:34], v[39:40], v[43:44]
	v_add_f64 v[20:21], v[20:21], v[37:38]
	s_delay_alu instid0(VALU_DEP_2) | instskip(SKIP_2) | instid1(VALU_DEP_4)
	v_fma_f64 v[45:46], v[33:34], -0.5, v[22:23]
	v_add_f64 v[22:23], v[22:23], v[39:40]
	v_add_f64 v[39:40], v[39:40], -v[43:44]
	v_add_f64 v[20:21], v[20:21], v[41:42]
	v_add_f64 v[41:42], v[37:38], -v[41:42]
	s_delay_alu instid0(VALU_DEP_4) | instskip(NEXT) | instid1(VALU_DEP_4)
	v_add_f64 v[22:23], v[22:23], v[43:44]
	v_fma_f64 v[33:34], v[39:40], s[2:3], v[35:36]
	v_fma_f64 v[37:38], v[39:40], s[8:9], v[35:36]
	s_delay_alu instid0(VALU_DEP_4)
	v_fma_f64 v[35:36], v[41:42], s[8:9], v[45:46]
	v_fma_f64 v[39:40], v[41:42], s[2:3], v[45:46]
	ds_load_b128 v[41:44], v32 offset:4320
	ds_load_b128 v[45:48], v32 offset:5760
	s_waitcnt lgkmcnt(1)
	v_fma_f64 v[59:60], v[59:60], -0.5, v[43:44]
	v_add_f64 v[43:44], v[43:44], v[51:52]
	v_fma_f64 v[57:58], v[57:58], -0.5, v[41:42]
	v_add_f64 v[41:42], v[41:42], v[49:50]
	v_add_f64 v[51:52], v[51:52], -v[55:56]
	s_delay_alu instid0(VALU_DEP_4) | instskip(SKIP_1) | instid1(VALU_DEP_4)
	v_add_f64 v[43:44], v[43:44], v[55:56]
	v_add_f64 v[55:56], v[49:50], -v[53:54]
	v_add_f64 v[41:42], v[41:42], v[53:54]
	s_delay_alu instid0(VALU_DEP_4) | instskip(SKIP_1) | instid1(VALU_DEP_4)
	v_fma_f64 v[49:50], v[51:52], s[2:3], v[57:58]
	v_fma_f64 v[53:54], v[51:52], s[8:9], v[57:58]
	;; [unrolled: 1-line block ×4, first 2 shown]
	ds_load_b128 v[57:60], v32 offset:7200
	ds_load_b128 v[61:64], v32 offset:8640
	;; [unrolled: 1-line block ×4, first 2 shown]
	s_waitcnt lgkmcnt(0)
	s_barrier
	buffer_gl0_inv
	ds_store_b128 v32, v[4:7]
	ds_store_b128 v32, v[8:11] offset:4800
	ds_store_b128 v32, v[12:15] offset:9600
	;; [unrolled: 1-line block ×8, first 2 shown]
	ds_store_b128 v213, v[41:44]
	ds_store_b128 v213, v[49:52] offset:4800
	ds_store_b128 v213, v[53:56] offset:9600
	v_add_f64 v[4:5], v[73:74], v[77:78]
	v_add_f64 v[8:9], v[45:46], v[73:74]
	v_add_f64 v[12:13], v[75:76], -v[79:80]
	v_add_f64 v[16:17], v[73:74], -v[77:78]
	v_add_f64 v[20:21], v[57:58], v[81:82]
	v_add_f64 v[24:25], v[83:84], -v[87:88]
	v_add_f64 v[28:29], v[81:82], -v[85:86]
	;; [unrolled: 3-line block ×3, first 2 shown]
	v_fma_f64 v[10:11], v[4:5], -0.5, v[45:46]
	v_add_f64 v[4:5], v[75:76], v[79:80]
	s_delay_alu instid0(VALU_DEP_1) | instskip(SKIP_1) | instid1(VALU_DEP_1)
	v_fma_f64 v[14:15], v[4:5], -0.5, v[47:48]
	v_add_f64 v[4:5], v[47:48], v[75:76]
	v_add_f64 v[6:7], v[4:5], v[79:80]
	;; [unrolled: 1-line block ×3, first 2 shown]
	v_fma_f64 v[8:9], v[12:13], s[2:3], v[10:11]
	v_fma_f64 v[12:13], v[12:13], s[8:9], v[10:11]
	;; [unrolled: 1-line block ×4, first 2 shown]
	v_add_f64 v[16:17], v[81:82], v[85:86]
	s_delay_alu instid0(VALU_DEP_1) | instskip(SKIP_1) | instid1(VALU_DEP_1)
	v_fma_f64 v[22:23], v[16:17], -0.5, v[57:58]
	v_add_f64 v[16:17], v[83:84], v[87:88]
	v_fma_f64 v[26:27], v[16:17], -0.5, v[59:60]
	v_add_f64 v[16:17], v[59:60], v[83:84]
	s_delay_alu instid0(VALU_DEP_1)
	v_add_f64 v[18:19], v[16:17], v[87:88]
	v_add_f64 v[16:17], v[20:21], v[85:86]
	v_fma_f64 v[20:21], v[24:25], s[2:3], v[22:23]
	v_fma_f64 v[24:25], v[24:25], s[8:9], v[22:23]
	;; [unrolled: 1-line block ×4, first 2 shown]
	v_add_f64 v[28:29], v[89:90], v[93:94]
	s_delay_alu instid0(VALU_DEP_1) | instskip(SKIP_1) | instid1(VALU_DEP_1)
	v_fma_f64 v[35:36], v[28:29], -0.5, v[61:62]
	v_add_f64 v[28:29], v[91:92], v[95:96]
	v_fma_f64 v[39:40], v[28:29], -0.5, v[63:64]
	v_add_f64 v[28:29], v[63:64], v[91:92]
	s_delay_alu instid0(VALU_DEP_1)
	v_add_f64 v[30:31], v[28:29], v[95:96]
	v_add_f64 v[28:29], v[33:34], v[93:94]
	v_fma_f64 v[33:34], v[37:38], s[2:3], v[35:36]
	v_fma_f64 v[37:38], v[37:38], s[8:9], v[35:36]
	;; [unrolled: 1-line block ×4, first 2 shown]
	ds_store_b128 v32, v[4:7] offset:15360
	ds_store_b128 v32, v[16:19] offset:16800
	;; [unrolled: 1-line block ×6, first 2 shown]
	ds_store_b128 v212, v[28:31]
	ds_store_b128 v212, v[33:36] offset:4800
	ds_store_b128 v212, v[37:40] offset:9600
	v_add_f64 v[4:5], v[97:98], v[101:102]
	v_add_f64 v[8:9], v[65:66], v[97:98]
	v_add_f64 v[12:13], v[99:100], -v[103:104]
	v_add_f64 v[16:17], v[97:98], -v[101:102]
	s_delay_alu instid0(VALU_DEP_4) | instskip(SKIP_1) | instid1(VALU_DEP_1)
	v_fma_f64 v[10:11], v[4:5], -0.5, v[65:66]
	v_add_f64 v[4:5], v[99:100], v[103:104]
	v_fma_f64 v[14:15], v[4:5], -0.5, v[67:68]
	v_add_f64 v[4:5], v[67:68], v[99:100]
	s_delay_alu instid0(VALU_DEP_1)
	v_add_f64 v[6:7], v[4:5], v[103:104]
	v_add_f64 v[4:5], v[8:9], v[101:102]
	v_fma_f64 v[8:9], v[12:13], s[2:3], v[10:11]
	v_fma_f64 v[12:13], v[12:13], s[8:9], v[10:11]
	;; [unrolled: 1-line block ×4, first 2 shown]
	ds_store_b128 v207, v[4:7] offset:28800
	ds_store_b128 v207, v[8:11] offset:33600
	ds_store_b128 v207, v[12:15] offset:38400
	v_add_f64 v[4:5], v[105:106], v[109:110]
	v_add_f64 v[8:9], v[69:70], v[105:106]
	v_add_f64 v[12:13], v[107:108], -v[111:112]
	v_add_f64 v[16:17], v[105:106], -v[109:110]
	s_delay_alu instid0(VALU_DEP_4) | instskip(SKIP_1) | instid1(VALU_DEP_1)
	v_fma_f64 v[10:11], v[4:5], -0.5, v[69:70]
	v_add_f64 v[4:5], v[107:108], v[111:112]
	v_fma_f64 v[14:15], v[4:5], -0.5, v[71:72]
	v_add_f64 v[4:5], v[71:72], v[107:108]
	s_delay_alu instid0(VALU_DEP_1)
	v_add_f64 v[6:7], v[4:5], v[111:112]
	v_add_f64 v[4:5], v[8:9], v[109:110]
	v_fma_f64 v[8:9], v[12:13], s[2:3], v[10:11]
	v_fma_f64 v[12:13], v[12:13], s[8:9], v[10:11]
	;; [unrolled: 1-line block ×4, first 2 shown]
	ds_store_b128 v194, v[4:7] offset:28800
	ds_store_b128 v194, v[8:11] offset:33600
	;; [unrolled: 1-line block ×3, first 2 shown]
	v_add_f64 v[4:5], v[113:114], v[117:118]
	v_add_f64 v[8:9], v[115:116], -v[119:120]
	v_add_f64 v[12:13], v[113:114], -v[117:118]
	s_delay_alu instid0(VALU_DEP_3) | instskip(SKIP_2) | instid1(VALU_DEP_2)
	v_fma_f64 v[6:7], v[4:5], -0.5, v[0:1]
	v_add_f64 v[4:5], v[115:116], v[119:120]
	v_add_f64 v[0:1], v[0:1], v[113:114]
	v_fma_f64 v[10:11], v[4:5], -0.5, v[2:3]
	v_add_f64 v[2:3], v[2:3], v[115:116]
	s_delay_alu instid0(VALU_DEP_3)
	v_add_f64 v[0:1], v[0:1], v[117:118]
	v_fma_f64 v[4:5], v[8:9], s[2:3], v[6:7]
	v_fma_f64 v[8:9], v[8:9], s[8:9], v[6:7]
	;; [unrolled: 1-line block ×3, first 2 shown]
	v_add_f64 v[2:3], v[2:3], v[119:120]
	v_fma_f64 v[10:11], v[12:13], s[2:3], v[10:11]
	ds_store_b128 v193, v[0:3] offset:28800
	ds_store_b128 v193, v[4:7] offset:33600
	;; [unrolled: 1-line block ×3, first 2 shown]
	s_waitcnt lgkmcnt(0)
	s_barrier
	buffer_gl0_inv
	ds_load_b128 v[0:3], v32 offset:14400
	ds_load_b128 v[4:7], v32 offset:12960
	scratch_load_b128 v[10:13], off, off offset:688 ; 16-byte Folded Reload
	s_waitcnt vmcnt(0) lgkmcnt(1)
	v_mul_f64 v[8:9], v[12:13], v[2:3]
	s_delay_alu instid0(VALU_DEP_1) | instskip(SKIP_1) | instid1(VALU_DEP_1)
	v_fma_f64 v[20:21], v[10:11], v[0:1], v[8:9]
	v_mul_f64 v[0:1], v[12:13], v[0:1]
	v_fma_f64 v[22:23], v[10:11], v[2:3], -v[0:1]
	ds_load_b128 v[0:3], v32 offset:28800
	ds_load_b128 v[8:11], v32 offset:27360
	scratch_load_b128 v[14:17], off, off offset:672 ; 16-byte Folded Reload
	s_waitcnt vmcnt(0) lgkmcnt(1)
	v_mul_f64 v[12:13], v[16:17], v[2:3]
	s_delay_alu instid0(VALU_DEP_1) | instskip(SKIP_1) | instid1(VALU_DEP_1)
	v_fma_f64 v[24:25], v[14:15], v[0:1], v[12:13]
	v_mul_f64 v[0:1], v[16:17], v[0:1]
	v_fma_f64 v[26:27], v[14:15], v[2:3], -v[0:1]
	;; [unrolled: 9-line block ×3, first 2 shown]
	ds_load_b128 v[0:3], v32 offset:30240
	ds_load_b128 v[16:19], v32 offset:31680
	s_clause 0x1
	scratch_load_b128 v[35:38], off, off offset:736
	scratch_load_b128 v[39:42], off, off offset:768
	s_waitcnt vmcnt(1) lgkmcnt(1)
	v_mul_f64 v[33:34], v[37:38], v[2:3]
	s_delay_alu instid0(VALU_DEP_1) | instskip(SKIP_1) | instid1(VALU_DEP_1)
	v_fma_f64 v[33:34], v[35:36], v[0:1], v[33:34]
	v_mul_f64 v[0:1], v[37:38], v[0:1]
	v_fma_f64 v[35:36], v[35:36], v[2:3], -v[0:1]
	s_waitcnt vmcnt(0)
	v_mul_f64 v[0:1], v[41:42], v[14:15]
	s_delay_alu instid0(VALU_DEP_1) | instskip(SKIP_1) | instid1(VALU_DEP_1)
	v_fma_f64 v[37:38], v[39:40], v[12:13], v[0:1]
	v_mul_f64 v[0:1], v[41:42], v[12:13]
	v_fma_f64 v[39:40], v[39:40], v[14:15], -v[0:1]
	scratch_load_b128 v[12:15], off, off offset:784 ; 16-byte Folded Reload
	s_waitcnt vmcnt(0) lgkmcnt(0)
	v_mul_f64 v[0:1], v[14:15], v[18:19]
	s_delay_alu instid0(VALU_DEP_1) | instskip(SKIP_1) | instid1(VALU_DEP_1)
	v_fma_f64 v[41:42], v[12:13], v[16:17], v[0:1]
	v_mul_f64 v[0:1], v[14:15], v[16:17]
	v_fma_f64 v[43:44], v[12:13], v[18:19], -v[0:1]
	ds_load_b128 v[0:3], v32 offset:18720
	ds_load_b128 v[12:15], v32 offset:20160
	scratch_load_b128 v[45:48], off, off offset:848 ; 16-byte Folded Reload
	s_waitcnt vmcnt(0) lgkmcnt(1)
	v_mul_f64 v[16:17], v[47:48], v[2:3]
	s_delay_alu instid0(VALU_DEP_1) | instskip(SKIP_1) | instid1(VALU_DEP_1)
	v_fma_f64 v[49:50], v[45:46], v[0:1], v[16:17]
	v_mul_f64 v[0:1], v[47:48], v[0:1]
	v_fma_f64 v[51:52], v[45:46], v[2:3], -v[0:1]
	ds_load_b128 v[0:3], v32 offset:33120
	ds_load_b128 v[16:19], v32 offset:34560
	scratch_load_b128 v[55:58], off, off offset:832 ; 16-byte Folded Reload
	s_waitcnt vmcnt(0) lgkmcnt(1)
	v_mul_f64 v[45:46], v[57:58], v[2:3]
	s_delay_alu instid0(VALU_DEP_1) | instskip(SKIP_2) | instid1(VALU_DEP_1)
	v_fma_f64 v[53:54], v[55:56], v[0:1], v[45:46]
	scratch_load_b128 v[45:48], off, off offset:864 ; 16-byte Folded Reload
	v_mul_f64 v[0:1], v[57:58], v[0:1]
	v_fma_f64 v[55:56], v[55:56], v[2:3], -v[0:1]
	s_waitcnt vmcnt(0)
	v_mul_f64 v[0:1], v[47:48], v[14:15]
	s_delay_alu instid0(VALU_DEP_1) | instskip(SKIP_1) | instid1(VALU_DEP_1)
	v_fma_f64 v[57:58], v[45:46], v[12:13], v[0:1]
	v_mul_f64 v[0:1], v[47:48], v[12:13]
	v_fma_f64 v[59:60], v[45:46], v[14:15], -v[0:1]
	scratch_load_b128 v[12:15], off, off offset:880 ; 16-byte Folded Reload
	s_waitcnt vmcnt(0) lgkmcnt(0)
	v_mul_f64 v[0:1], v[14:15], v[18:19]
	s_delay_alu instid0(VALU_DEP_1) | instskip(SKIP_1) | instid1(VALU_DEP_1)
	v_fma_f64 v[61:62], v[12:13], v[16:17], v[0:1]
	v_mul_f64 v[0:1], v[14:15], v[16:17]
	v_fma_f64 v[63:64], v[12:13], v[18:19], -v[0:1]
	ds_load_b128 v[0:3], v32 offset:21600
	ds_load_b128 v[12:15], v32 offset:23040
	scratch_load_b128 v[45:48], off, off offset:944 ; 16-byte Folded Reload
	s_waitcnt vmcnt(0) lgkmcnt(1)
	v_mul_f64 v[16:17], v[47:48], v[2:3]
	s_delay_alu instid0(VALU_DEP_1) | instskip(SKIP_1) | instid1(VALU_DEP_1)
	v_fma_f64 v[73:74], v[45:46], v[0:1], v[16:17]
	v_mul_f64 v[0:1], v[47:48], v[0:1]
	v_fma_f64 v[75:76], v[45:46], v[2:3], -v[0:1]
	ds_load_b128 v[0:3], v32 offset:36000
	ds_load_b128 v[16:19], v32 offset:37440
	scratch_load_b128 v[65:68], off, off offset:928 ; 16-byte Folded Reload
	s_waitcnt vmcnt(0) lgkmcnt(1)
	v_mul_f64 v[45:46], v[67:68], v[2:3]
	s_delay_alu instid0(VALU_DEP_1) | instskip(SKIP_3) | instid1(VALU_DEP_2)
	v_fma_f64 v[77:78], v[65:66], v[0:1], v[45:46]
	scratch_load_b128 v[45:48], off, off offset:960 ; 16-byte Folded Reload
	v_mul_f64 v[0:1], v[67:68], v[0:1]
	v_add_f64 v[89:90], v[73:74], v[77:78]
	v_fma_f64 v[79:80], v[65:66], v[2:3], -v[0:1]
	s_delay_alu instid0(VALU_DEP_1) | instskip(SKIP_2) | instid1(VALU_DEP_1)
	v_add_f64 v[91:92], v[75:76], v[79:80]
	s_waitcnt vmcnt(0)
	v_mul_f64 v[0:1], v[47:48], v[14:15]
	v_fma_f64 v[81:82], v[45:46], v[12:13], v[0:1]
	v_mul_f64 v[0:1], v[47:48], v[12:13]
	s_delay_alu instid0(VALU_DEP_1) | instskip(SKIP_3) | instid1(VALU_DEP_1)
	v_fma_f64 v[83:84], v[45:46], v[14:15], -v[0:1]
	scratch_load_b128 v[12:15], off, off offset:976 ; 16-byte Folded Reload
	s_waitcnt vmcnt(0) lgkmcnt(0)
	v_mul_f64 v[0:1], v[14:15], v[18:19]
	v_fma_f64 v[85:86], v[12:13], v[16:17], v[0:1]
	v_mul_f64 v[0:1], v[14:15], v[16:17]
	s_delay_alu instid0(VALU_DEP_1)
	v_fma_f64 v[87:88], v[12:13], v[18:19], -v[0:1]
	ds_load_b128 v[0:3], v32 offset:24480
	ds_load_b128 v[12:15], v32 offset:25920
	scratch_load_b128 v[45:48], off, off offset:1040 ; 16-byte Folded Reload
	s_waitcnt vmcnt(0) lgkmcnt(1)
	v_mul_f64 v[16:17], v[47:48], v[2:3]
	s_delay_alu instid0(VALU_DEP_1) | instskip(SKIP_1) | instid1(VALU_DEP_1)
	v_fma_f64 v[97:98], v[45:46], v[0:1], v[16:17]
	v_mul_f64 v[0:1], v[47:48], v[0:1]
	v_fma_f64 v[99:100], v[45:46], v[2:3], -v[0:1]
	ds_load_b128 v[0:3], v32 offset:38880
	ds_load_b128 v[16:19], v32 offset:40320
	scratch_load_b128 v[65:68], off, off offset:1024 ; 16-byte Folded Reload
	s_waitcnt vmcnt(0) lgkmcnt(1)
	v_mul_f64 v[45:46], v[67:68], v[2:3]
	s_delay_alu instid0(VALU_DEP_1) | instskip(SKIP_2) | instid1(VALU_DEP_3)
	v_fma_f64 v[101:102], v[65:66], v[0:1], v[45:46]
	v_mul_f64 v[0:1], v[67:68], v[0:1]
	v_add_f64 v[67:68], v[51:52], v[55:56]
	v_add_f64 v[121:122], v[97:98], v[101:102]
	s_delay_alu instid0(VALU_DEP_3) | instskip(SKIP_2) | instid1(VALU_DEP_3)
	v_fma_f64 v[103:104], v[65:66], v[2:3], -v[0:1]
	v_mul_f64 v[0:1], v[254:255], v[14:15]
	v_add_f64 v[65:66], v[49:50], v[53:54]
	v_add_f64 v[123:124], v[99:100], v[103:104]
	s_delay_alu instid0(VALU_DEP_3) | instskip(SKIP_1) | instid1(VALU_DEP_1)
	v_fma_f64 v[105:106], v[252:253], v[12:13], v[0:1]
	v_mul_f64 v[0:1], v[254:255], v[12:13]
	v_fma_f64 v[107:108], v[252:253], v[14:15], -v[0:1]
	scratch_load_b128 v[12:15], off, off offset:1072 ; 16-byte Folded Reload
	s_waitcnt vmcnt(0) lgkmcnt(0)
	v_mul_f64 v[0:1], v[14:15], v[18:19]
	s_delay_alu instid0(VALU_DEP_1) | instskip(SKIP_2) | instid1(VALU_DEP_2)
	v_fma_f64 v[109:110], v[12:13], v[16:17], v[0:1]
	v_mul_f64 v[0:1], v[14:15], v[16:17]
	v_add_f64 v[16:17], v[20:21], -v[24:25]
	v_fma_f64 v[111:112], v[12:13], v[18:19], -v[0:1]
	v_mul_f64 v[0:1], v[218:219], v[10:11]
	s_delay_alu instid0(VALU_DEP_1) | instskip(SKIP_1) | instid1(VALU_DEP_1)
	v_fma_f64 v[113:114], v[216:217], v[8:9], v[0:1]
	v_mul_f64 v[0:1], v[218:219], v[8:9]
	v_fma_f64 v[115:116], v[216:217], v[10:11], -v[0:1]
	ds_load_b128 v[0:3], v32 offset:41760
	ds_load_b128 v[8:11], v32
	s_waitcnt lgkmcnt(1)
	v_mul_f64 v[12:13], v[246:247], v[2:3]
	s_delay_alu instid0(VALU_DEP_1) | instskip(SKIP_1) | instid1(VALU_DEP_1)
	v_fma_f64 v[117:118], v[244:245], v[0:1], v[12:13]
	v_mul_f64 v[0:1], v[246:247], v[0:1]
	v_fma_f64 v[119:120], v[244:245], v[2:3], -v[0:1]
	v_add_f64 v[0:1], v[20:21], v[24:25]
	s_waitcnt lgkmcnt(0)
	s_delay_alu instid0(VALU_DEP_1) | instskip(SKIP_2) | instid1(VALU_DEP_2)
	v_fma_f64 v[12:13], v[0:1], -0.5, v[8:9]
	v_add_f64 v[0:1], v[22:23], v[26:27]
	v_add_f64 v[8:9], v[8:9], v[20:21]
	v_fma_f64 v[14:15], v[0:1], -0.5, v[10:11]
	v_add_f64 v[0:1], v[10:11], v[22:23]
	v_add_f64 v[10:11], v[22:23], -v[26:27]
	s_delay_alu instid0(VALU_DEP_2) | instskip(SKIP_2) | instid1(VALU_DEP_4)
	v_add_f64 v[2:3], v[0:1], v[26:27]
	v_add_f64 v[0:1], v[8:9], v[24:25]
	;; [unrolled: 1-line block ×3, first 2 shown]
	v_fma_f64 v[8:9], v[10:11], s[2:3], v[12:13]
	v_fma_f64 v[12:13], v[10:11], s[8:9], v[12:13]
	;; [unrolled: 1-line block ×4, first 2 shown]
	ds_load_b128 v[16:19], v32 offset:1440
	ds_load_b128 v[20:23], v32 offset:2880
	s_waitcnt lgkmcnt(1)
	v_fma_f64 v[26:27], v[24:25], -0.5, v[16:17]
	v_add_f64 v[24:25], v[30:31], v[35:36]
	v_add_f64 v[16:17], v[16:17], v[28:29]
	s_delay_alu instid0(VALU_DEP_2) | instskip(SKIP_2) | instid1(VALU_DEP_4)
	v_fma_f64 v[45:46], v[24:25], -0.5, v[18:19]
	v_add_f64 v[18:19], v[18:19], v[30:31]
	v_add_f64 v[30:31], v[30:31], -v[35:36]
	v_add_f64 v[16:17], v[16:17], v[33:34]
	v_add_f64 v[33:34], v[28:29], -v[33:34]
	s_delay_alu instid0(VALU_DEP_4) | instskip(NEXT) | instid1(VALU_DEP_4)
	v_add_f64 v[18:19], v[18:19], v[35:36]
	v_fma_f64 v[24:25], v[30:31], s[2:3], v[26:27]
	v_fma_f64 v[28:29], v[30:31], s[8:9], v[26:27]
	s_delay_alu instid0(VALU_DEP_4) | instskip(SKIP_3) | instid1(VALU_DEP_1)
	v_fma_f64 v[26:27], v[33:34], s[8:9], v[45:46]
	v_fma_f64 v[30:31], v[33:34], s[2:3], v[45:46]
	v_add_f64 v[33:34], v[37:38], v[41:42]
	s_waitcnt lgkmcnt(0)
	v_fma_f64 v[35:36], v[33:34], -0.5, v[20:21]
	v_add_f64 v[33:34], v[39:40], v[43:44]
	v_add_f64 v[20:21], v[20:21], v[37:38]
	s_delay_alu instid0(VALU_DEP_2) | instskip(SKIP_2) | instid1(VALU_DEP_4)
	v_fma_f64 v[45:46], v[33:34], -0.5, v[22:23]
	v_add_f64 v[22:23], v[22:23], v[39:40]
	v_add_f64 v[39:40], v[39:40], -v[43:44]
	v_add_f64 v[20:21], v[20:21], v[41:42]
	v_add_f64 v[41:42], v[37:38], -v[41:42]
	s_delay_alu instid0(VALU_DEP_4) | instskip(NEXT) | instid1(VALU_DEP_4)
	v_add_f64 v[22:23], v[22:23], v[43:44]
	v_fma_f64 v[33:34], v[39:40], s[2:3], v[35:36]
	v_fma_f64 v[37:38], v[39:40], s[8:9], v[35:36]
	s_delay_alu instid0(VALU_DEP_4)
	v_fma_f64 v[35:36], v[41:42], s[8:9], v[45:46]
	v_fma_f64 v[39:40], v[41:42], s[2:3], v[45:46]
	ds_load_b128 v[41:44], v32 offset:4320
	ds_load_b128 v[45:48], v32 offset:5760
	s_waitcnt lgkmcnt(1)
	v_fma_f64 v[67:68], v[67:68], -0.5, v[43:44]
	v_add_f64 v[43:44], v[43:44], v[51:52]
	v_fma_f64 v[65:66], v[65:66], -0.5, v[41:42]
	v_add_f64 v[41:42], v[41:42], v[49:50]
	v_add_f64 v[51:52], v[51:52], -v[55:56]
	s_delay_alu instid0(VALU_DEP_4) | instskip(SKIP_1) | instid1(VALU_DEP_4)
	v_add_f64 v[43:44], v[43:44], v[55:56]
	v_add_f64 v[55:56], v[49:50], -v[53:54]
	v_add_f64 v[41:42], v[41:42], v[53:54]
	s_delay_alu instid0(VALU_DEP_4)
	v_fma_f64 v[49:50], v[51:52], s[2:3], v[65:66]
	v_fma_f64 v[53:54], v[51:52], s[8:9], v[65:66]
	v_add_f64 v[65:66], v[57:58], v[61:62]
	v_fma_f64 v[51:52], v[55:56], s[8:9], v[67:68]
	v_fma_f64 v[55:56], v[55:56], s[2:3], v[67:68]
	v_add_f64 v[67:68], v[59:60], v[63:64]
	s_waitcnt lgkmcnt(0)
	s_delay_alu instid0(VALU_DEP_4) | instskip(SKIP_1) | instid1(VALU_DEP_3)
	v_fma_f64 v[65:66], v[65:66], -0.5, v[45:46]
	v_add_f64 v[45:46], v[45:46], v[57:58]
	v_fma_f64 v[67:68], v[67:68], -0.5, v[47:48]
	v_add_f64 v[47:48], v[47:48], v[59:60]
	v_add_f64 v[59:60], v[59:60], -v[63:64]
	s_delay_alu instid0(VALU_DEP_4) | instskip(NEXT) | instid1(VALU_DEP_3)
	v_add_f64 v[45:46], v[45:46], v[61:62]
	v_add_f64 v[47:48], v[47:48], v[63:64]
	v_add_f64 v[63:64], v[57:58], -v[61:62]
	s_delay_alu instid0(VALU_DEP_4) | instskip(SKIP_1) | instid1(VALU_DEP_3)
	v_fma_f64 v[57:58], v[59:60], s[2:3], v[65:66]
	v_fma_f64 v[61:62], v[59:60], s[8:9], v[65:66]
	;; [unrolled: 1-line block ×4, first 2 shown]
	ds_load_b128 v[65:68], v32 offset:7200
	ds_load_b128 v[69:72], v32 offset:8640
	s_waitcnt lgkmcnt(1)
	v_fma_f64 v[91:92], v[91:92], -0.5, v[67:68]
	v_add_f64 v[67:68], v[67:68], v[75:76]
	v_fma_f64 v[89:90], v[89:90], -0.5, v[65:66]
	v_add_f64 v[65:66], v[65:66], v[73:74]
	v_add_f64 v[75:76], v[75:76], -v[79:80]
	s_delay_alu instid0(VALU_DEP_4) | instskip(SKIP_1) | instid1(VALU_DEP_4)
	v_add_f64 v[67:68], v[67:68], v[79:80]
	v_add_f64 v[79:80], v[73:74], -v[77:78]
	v_add_f64 v[65:66], v[65:66], v[77:78]
	s_delay_alu instid0(VALU_DEP_4)
	v_fma_f64 v[73:74], v[75:76], s[2:3], v[89:90]
	v_fma_f64 v[77:78], v[75:76], s[8:9], v[89:90]
	v_add_f64 v[89:90], v[81:82], v[85:86]
	v_fma_f64 v[75:76], v[79:80], s[8:9], v[91:92]
	v_fma_f64 v[79:80], v[79:80], s[2:3], v[91:92]
	v_add_f64 v[91:92], v[83:84], v[87:88]
	s_waitcnt lgkmcnt(0)
	s_delay_alu instid0(VALU_DEP_4) | instskip(SKIP_1) | instid1(VALU_DEP_3)
	v_fma_f64 v[89:90], v[89:90], -0.5, v[69:70]
	v_add_f64 v[69:70], v[69:70], v[81:82]
	v_fma_f64 v[91:92], v[91:92], -0.5, v[71:72]
	v_add_f64 v[71:72], v[71:72], v[83:84]
	v_add_f64 v[83:84], v[83:84], -v[87:88]
	s_delay_alu instid0(VALU_DEP_4) | instskip(NEXT) | instid1(VALU_DEP_3)
	v_add_f64 v[69:70], v[69:70], v[85:86]
	v_add_f64 v[71:72], v[71:72], v[87:88]
	v_add_f64 v[87:88], v[81:82], -v[85:86]
	s_delay_alu instid0(VALU_DEP_4) | instskip(SKIP_1) | instid1(VALU_DEP_3)
	v_fma_f64 v[81:82], v[83:84], s[2:3], v[89:90]
	v_fma_f64 v[85:86], v[83:84], s[8:9], v[89:90]
	;; [unrolled: 1-line block ×4, first 2 shown]
	ds_load_b128 v[89:92], v32 offset:10080
	ds_load_b128 v[93:96], v32 offset:11520
	s_waitcnt lgkmcnt(1)
	v_fma_f64 v[123:124], v[123:124], -0.5, v[91:92]
	v_add_f64 v[91:92], v[91:92], v[99:100]
	v_fma_f64 v[121:122], v[121:122], -0.5, v[89:90]
	v_add_f64 v[89:90], v[89:90], v[97:98]
	v_add_f64 v[99:100], v[99:100], -v[103:104]
	s_delay_alu instid0(VALU_DEP_4) | instskip(SKIP_1) | instid1(VALU_DEP_4)
	v_add_f64 v[91:92], v[91:92], v[103:104]
	v_add_f64 v[103:104], v[97:98], -v[101:102]
	v_add_f64 v[89:90], v[89:90], v[101:102]
	s_delay_alu instid0(VALU_DEP_4)
	v_fma_f64 v[97:98], v[99:100], s[2:3], v[121:122]
	v_fma_f64 v[101:102], v[99:100], s[8:9], v[121:122]
	v_add_f64 v[121:122], v[105:106], v[109:110]
	v_fma_f64 v[99:100], v[103:104], s[8:9], v[123:124]
	v_fma_f64 v[103:104], v[103:104], s[2:3], v[123:124]
	v_add_f64 v[123:124], v[107:108], v[111:112]
	s_waitcnt lgkmcnt(0)
	s_delay_alu instid0(VALU_DEP_4) | instskip(SKIP_1) | instid1(VALU_DEP_3)
	v_fma_f64 v[121:122], v[121:122], -0.5, v[93:94]
	v_add_f64 v[93:94], v[93:94], v[105:106]
	v_fma_f64 v[123:124], v[123:124], -0.5, v[95:96]
	v_add_f64 v[95:96], v[95:96], v[107:108]
	v_add_f64 v[107:108], v[107:108], -v[111:112]
	s_delay_alu instid0(VALU_DEP_4) | instskip(NEXT) | instid1(VALU_DEP_3)
	v_add_f64 v[93:94], v[93:94], v[109:110]
	v_add_f64 v[95:96], v[95:96], v[111:112]
	v_add_f64 v[111:112], v[105:106], -v[109:110]
	s_delay_alu instid0(VALU_DEP_4) | instskip(SKIP_2) | instid1(VALU_DEP_4)
	v_fma_f64 v[105:106], v[107:108], s[2:3], v[121:122]
	v_fma_f64 v[109:110], v[107:108], s[8:9], v[121:122]
	v_add_f64 v[121:122], v[113:114], v[117:118]
	v_fma_f64 v[107:108], v[111:112], s[8:9], v[123:124]
	v_fma_f64 v[111:112], v[111:112], s[2:3], v[123:124]
	v_add_f64 v[123:124], v[115:116], v[119:120]
	s_delay_alu instid0(VALU_DEP_4) | instskip(SKIP_1) | instid1(VALU_DEP_3)
	v_fma_f64 v[121:122], v[121:122], -0.5, v[4:5]
	v_add_f64 v[4:5], v[4:5], v[113:114]
	v_fma_f64 v[123:124], v[123:124], -0.5, v[6:7]
	v_add_f64 v[6:7], v[6:7], v[115:116]
	v_add_f64 v[115:116], v[115:116], -v[119:120]
	s_delay_alu instid0(VALU_DEP_4) | instskip(NEXT) | instid1(VALU_DEP_3)
	v_add_f64 v[4:5], v[4:5], v[117:118]
	v_add_f64 v[6:7], v[6:7], v[119:120]
	v_add_f64 v[119:120], v[113:114], -v[117:118]
	s_delay_alu instid0(VALU_DEP_4) | instskip(SKIP_1) | instid1(VALU_DEP_3)
	v_fma_f64 v[113:114], v[115:116], s[2:3], v[121:122]
	v_fma_f64 v[117:118], v[115:116], s[8:9], v[121:122]
	;; [unrolled: 1-line block ×4, first 2 shown]
	ds_store_b128 v32, v[0:3]
	ds_store_b128 v32, v[8:11] offset:14400
	ds_store_b128 v32, v[12:15] offset:28800
	;; [unrolled: 1-line block ×29, first 2 shown]
	s_waitcnt lgkmcnt(0)
	s_barrier
	buffer_gl0_inv
	ds_load_b128 v[0:3], v32
	ds_load_b128 v[4:7], v32 offset:41760
	scratch_load_b128 v[10:13], off, off offset:216 ; 16-byte Folded Reload
	s_mul_i32 s2, s5, 0x3840
	s_mul_hi_u32 s3, s4, 0x3840
	s_delay_alu instid0(SALU_CYCLE_1) | instskip(SKIP_3) | instid1(VALU_DEP_1)
	s_add_i32 s3, s3, s2
	s_mul_i32 s2, s4, 0x3840
	s_waitcnt vmcnt(0) lgkmcnt(1)
	v_mul_f64 v[8:9], v[12:13], v[2:3]
	v_fma_f64 v[28:29], v[10:11], v[0:1], v[8:9]
	v_mul_f64 v[0:1], v[12:13], v[0:1]
	s_delay_alu instid0(VALU_DEP_1)
	v_fma_f64 v[30:31], v[10:11], v[2:3], -v[0:1]
	ds_load_b128 v[0:3], v32 offset:14400
	ds_load_b128 v[8:11], v32 offset:12960
	scratch_load_b128 v[14:17], off, off offset:200 ; 16-byte Folded Reload
	s_waitcnt vmcnt(0) lgkmcnt(1)
	v_mul_f64 v[12:13], v[16:17], v[2:3]
	s_delay_alu instid0(VALU_DEP_1) | instskip(SKIP_1) | instid1(VALU_DEP_1)
	v_fma_f64 v[33:34], v[14:15], v[0:1], v[12:13]
	v_mul_f64 v[0:1], v[16:17], v[0:1]
	v_fma_f64 v[35:36], v[14:15], v[2:3], -v[0:1]
	ds_load_b128 v[0:3], v32 offset:28800
	ds_load_b128 v[12:15], v32 offset:27360
	scratch_load_b128 v[18:21], off, off offset:168 ; 16-byte Folded Reload
	s_waitcnt vmcnt(0) lgkmcnt(1)
	v_mul_f64 v[16:17], v[20:21], v[2:3]
	s_delay_alu instid0(VALU_DEP_1) | instskip(SKIP_1) | instid1(VALU_DEP_1)
	v_fma_f64 v[37:38], v[18:19], v[0:1], v[16:17]
	v_mul_f64 v[0:1], v[20:21], v[0:1]
	;; [unrolled: 9-line block ×4, first 2 shown]
	v_fma_f64 v[47:48], v[47:48], v[2:3], -v[0:1]
	ds_load_b128 v[0:3], v32 offset:30240
	ds_load_b128 v[24:27], v32 offset:31680
	s_clause 0x1
	scratch_load_b128 v[51:54], off, off offset:56
	scratch_load_b128 v[55:58], off, off offset:72
	s_waitcnt vmcnt(1) lgkmcnt(1)
	v_mul_f64 v[49:50], v[53:54], v[2:3]
	s_delay_alu instid0(VALU_DEP_1) | instskip(SKIP_1) | instid1(VALU_DEP_1)
	v_fma_f64 v[49:50], v[51:52], v[0:1], v[49:50]
	v_mul_f64 v[0:1], v[53:54], v[0:1]
	v_fma_f64 v[51:52], v[51:52], v[2:3], -v[0:1]
	s_waitcnt vmcnt(0)
	v_mul_f64 v[0:1], v[57:58], v[18:19]
	s_delay_alu instid0(VALU_DEP_1) | instskip(SKIP_1) | instid1(VALU_DEP_1)
	v_fma_f64 v[53:54], v[55:56], v[16:17], v[0:1]
	v_mul_f64 v[0:1], v[57:58], v[16:17]
	v_fma_f64 v[55:56], v[55:56], v[18:19], -v[0:1]
	scratch_load_b128 v[16:19], off, off offset:88 ; 16-byte Folded Reload
	s_waitcnt vmcnt(0)
	v_mul_f64 v[0:1], v[18:19], v[22:23]
	s_delay_alu instid0(VALU_DEP_1) | instskip(SKIP_1) | instid1(VALU_DEP_1)
	v_fma_f64 v[57:58], v[16:17], v[20:21], v[0:1]
	v_mul_f64 v[0:1], v[18:19], v[20:21]
	v_fma_f64 v[59:60], v[16:17], v[22:23], -v[0:1]
	scratch_load_b128 v[16:19], off, off offset:40 ; 16-byte Folded Reload
	s_waitcnt vmcnt(0) lgkmcnt(0)
	v_mul_f64 v[0:1], v[18:19], v[26:27]
	s_delay_alu instid0(VALU_DEP_1) | instskip(SKIP_1) | instid1(VALU_DEP_1)
	v_fma_f64 v[61:62], v[16:17], v[24:25], v[0:1]
	v_mul_f64 v[0:1], v[18:19], v[24:25]
	v_fma_f64 v[63:64], v[16:17], v[26:27], -v[0:1]
	ds_load_b128 v[0:3], v32 offset:4320
	ds_load_b128 v[16:19], v32 offset:5760
	scratch_load_b128 v[22:25], off, off offset:8 ; 16-byte Folded Reload
	s_waitcnt vmcnt(0) lgkmcnt(1)
	v_mul_f64 v[20:21], v[24:25], v[2:3]
	s_delay_alu instid0(VALU_DEP_1) | instskip(SKIP_1) | instid1(VALU_DEP_1)
	v_fma_f64 v[65:66], v[22:23], v[0:1], v[20:21]
	v_mul_f64 v[0:1], v[24:25], v[0:1]
	v_fma_f64 v[67:68], v[22:23], v[2:3], -v[0:1]
	ds_load_b128 v[0:3], v32 offset:18720
	ds_load_b128 v[20:23], v32 offset:20160
	scratch_load_b128 v[71:74], off, off offset:24 ; 16-byte Folded Reload
	s_waitcnt vmcnt(0) lgkmcnt(1)
	v_mul_f64 v[24:25], v[73:74], v[2:3]
	s_delay_alu instid0(VALU_DEP_1) | instskip(SKIP_1) | instid1(VALU_DEP_1)
	v_fma_f64 v[69:70], v[71:72], v[0:1], v[24:25]
	v_mul_f64 v[0:1], v[73:74], v[0:1]
	v_fma_f64 v[71:72], v[71:72], v[2:3], -v[0:1]
	ds_load_b128 v[0:3], v32 offset:33120
	ds_load_b128 v[24:27], v32 offset:34560
	s_clause 0x1
	scratch_load_b128 v[75:78], off, off offset:104
	scratch_load_b128 v[79:82], off, off offset:136
	s_waitcnt vmcnt(1) lgkmcnt(1)
	v_mul_f64 v[73:74], v[77:78], v[2:3]
	s_delay_alu instid0(VALU_DEP_1) | instskip(SKIP_1) | instid1(VALU_DEP_1)
	v_fma_f64 v[73:74], v[75:76], v[0:1], v[73:74]
	v_mul_f64 v[0:1], v[77:78], v[0:1]
	v_fma_f64 v[75:76], v[75:76], v[2:3], -v[0:1]
	s_waitcnt vmcnt(0)
	v_mul_f64 v[0:1], v[81:82], v[18:19]
	s_delay_alu instid0(VALU_DEP_1) | instskip(SKIP_1) | instid1(VALU_DEP_1)
	v_fma_f64 v[77:78], v[79:80], v[16:17], v[0:1]
	v_mul_f64 v[0:1], v[81:82], v[16:17]
	v_fma_f64 v[79:80], v[79:80], v[18:19], -v[0:1]
	scratch_load_b128 v[16:19], off, off offset:184 ; 16-byte Folded Reload
	s_waitcnt vmcnt(0)
	v_mul_f64 v[0:1], v[18:19], v[22:23]
	s_delay_alu instid0(VALU_DEP_1) | instskip(SKIP_1) | instid1(VALU_DEP_1)
	v_fma_f64 v[81:82], v[16:17], v[20:21], v[0:1]
	v_mul_f64 v[0:1], v[18:19], v[20:21]
	v_fma_f64 v[83:84], v[16:17], v[22:23], -v[0:1]
	scratch_load_b128 v[16:19], off, off offset:232 ; 16-byte Folded Reload
	s_waitcnt vmcnt(0) lgkmcnt(0)
	v_mul_f64 v[0:1], v[18:19], v[26:27]
	s_delay_alu instid0(VALU_DEP_1) | instskip(SKIP_1) | instid1(VALU_DEP_1)
	v_fma_f64 v[85:86], v[16:17], v[24:25], v[0:1]
	v_mul_f64 v[0:1], v[18:19], v[24:25]
	v_fma_f64 v[87:88], v[16:17], v[26:27], -v[0:1]
	ds_load_b128 v[0:3], v32 offset:7200
	ds_load_b128 v[16:19], v32 offset:8640
	scratch_load_b128 v[22:25], off, off offset:248 ; 16-byte Folded Reload
	s_waitcnt vmcnt(0) lgkmcnt(1)
	v_mul_f64 v[20:21], v[24:25], v[2:3]
	s_delay_alu instid0(VALU_DEP_1) | instskip(SKIP_1) | instid1(VALU_DEP_1)
	v_fma_f64 v[89:90], v[22:23], v[0:1], v[20:21]
	v_mul_f64 v[0:1], v[24:25], v[0:1]
	v_fma_f64 v[91:92], v[22:23], v[2:3], -v[0:1]
	ds_load_b128 v[0:3], v32 offset:21600
	ds_load_b128 v[20:23], v32 offset:23040
	scratch_load_b128 v[95:98], off, off offset:264 ; 16-byte Folded Reload
	s_waitcnt vmcnt(0) lgkmcnt(1)
	v_mul_f64 v[24:25], v[97:98], v[2:3]
	s_delay_alu instid0(VALU_DEP_1) | instskip(SKIP_1) | instid1(VALU_DEP_1)
	v_fma_f64 v[93:94], v[95:96], v[0:1], v[24:25]
	v_mul_f64 v[0:1], v[97:98], v[0:1]
	v_fma_f64 v[95:96], v[95:96], v[2:3], -v[0:1]
	ds_load_b128 v[0:3], v32 offset:36000
	ds_load_b128 v[24:27], v32 offset:37440
	s_clause 0x1
	scratch_load_b128 v[99:102], off, off offset:280
	scratch_load_b128 v[103:106], off, off offset:312
	s_waitcnt vmcnt(1) lgkmcnt(1)
	v_mul_f64 v[97:98], v[101:102], v[2:3]
	s_delay_alu instid0(VALU_DEP_1) | instskip(SKIP_1) | instid1(VALU_DEP_1)
	v_fma_f64 v[97:98], v[99:100], v[0:1], v[97:98]
	v_mul_f64 v[0:1], v[101:102], v[0:1]
	v_fma_f64 v[99:100], v[99:100], v[2:3], -v[0:1]
	s_waitcnt vmcnt(0)
	v_mul_f64 v[0:1], v[105:106], v[18:19]
	s_delay_alu instid0(VALU_DEP_1) | instskip(SKIP_1) | instid1(VALU_DEP_1)
	v_fma_f64 v[101:102], v[103:104], v[16:17], v[0:1]
	v_mul_f64 v[0:1], v[105:106], v[16:17]
	v_fma_f64 v[103:104], v[103:104], v[18:19], -v[0:1]
	scratch_load_b128 v[16:19], off, off offset:328 ; 16-byte Folded Reload
	s_waitcnt vmcnt(0)
	v_mul_f64 v[0:1], v[18:19], v[22:23]
	s_delay_alu instid0(VALU_DEP_1) | instskip(SKIP_1) | instid1(VALU_DEP_1)
	v_fma_f64 v[105:106], v[16:17], v[20:21], v[0:1]
	v_mul_f64 v[0:1], v[18:19], v[20:21]
	v_fma_f64 v[107:108], v[16:17], v[22:23], -v[0:1]
	scratch_load_b128 v[16:19], off, off offset:344 ; 16-byte Folded Reload
	s_waitcnt vmcnt(0) lgkmcnt(0)
	v_mul_f64 v[0:1], v[18:19], v[26:27]
	s_delay_alu instid0(VALU_DEP_1) | instskip(SKIP_1) | instid1(VALU_DEP_1)
	v_fma_f64 v[109:110], v[16:17], v[24:25], v[0:1]
	v_mul_f64 v[0:1], v[18:19], v[24:25]
	v_fma_f64 v[111:112], v[16:17], v[26:27], -v[0:1]
	ds_load_b128 v[0:3], v32 offset:10080
	ds_load_b128 v[16:19], v32 offset:11520
	scratch_load_b128 v[22:25], off, off offset:360 ; 16-byte Folded Reload
	s_waitcnt vmcnt(0) lgkmcnt(1)
	v_mul_f64 v[20:21], v[24:25], v[2:3]
	s_delay_alu instid0(VALU_DEP_1) | instskip(SKIP_1) | instid1(VALU_DEP_1)
	v_fma_f64 v[113:114], v[22:23], v[0:1], v[20:21]
	v_mul_f64 v[0:1], v[24:25], v[0:1]
	v_fma_f64 v[115:116], v[22:23], v[2:3], -v[0:1]
	ds_load_b128 v[0:3], v32 offset:24480
	ds_load_b128 v[20:23], v32 offset:25920
	scratch_load_b128 v[119:122], off, off offset:376 ; 16-byte Folded Reload
	s_waitcnt vmcnt(0) lgkmcnt(1)
	v_mul_f64 v[24:25], v[121:122], v[2:3]
	s_delay_alu instid0(VALU_DEP_1) | instskip(SKIP_1) | instid1(VALU_DEP_1)
	v_fma_f64 v[117:118], v[119:120], v[0:1], v[24:25]
	v_mul_f64 v[0:1], v[121:122], v[0:1]
	v_fma_f64 v[119:120], v[119:120], v[2:3], -v[0:1]
	ds_load_b128 v[0:3], v32 offset:38880
	ds_load_b128 v[24:27], v32 offset:40320
	s_clause 0x1
	scratch_load_b128 v[123:126], off, off offset:392
	scratch_load_b128 v[127:130], off, off offset:408
	s_waitcnt vmcnt(1) lgkmcnt(1)
	v_mul_f64 v[121:122], v[125:126], v[2:3]
	s_delay_alu instid0(VALU_DEP_1) | instskip(SKIP_1) | instid1(VALU_DEP_1)
	v_fma_f64 v[121:122], v[123:124], v[0:1], v[121:122]
	v_mul_f64 v[0:1], v[125:126], v[0:1]
	v_fma_f64 v[123:124], v[123:124], v[2:3], -v[0:1]
	s_waitcnt vmcnt(0)
	v_mul_f64 v[0:1], v[129:130], v[18:19]
	s_delay_alu instid0(VALU_DEP_1) | instskip(SKIP_1) | instid1(VALU_DEP_1)
	v_fma_f64 v[125:126], v[127:128], v[16:17], v[0:1]
	v_mul_f64 v[0:1], v[129:130], v[16:17]
	v_fma_f64 v[127:128], v[127:128], v[18:19], -v[0:1]
	scratch_load_b128 v[16:19], off, off offset:424 ; 16-byte Folded Reload
	s_waitcnt vmcnt(0)
	v_mul_f64 v[0:1], v[18:19], v[22:23]
	s_delay_alu instid0(VALU_DEP_1) | instskip(SKIP_1) | instid1(VALU_DEP_1)
	v_fma_f64 v[129:130], v[16:17], v[20:21], v[0:1]
	v_mul_f64 v[0:1], v[18:19], v[20:21]
	v_fma_f64 v[131:132], v[16:17], v[22:23], -v[0:1]
	scratch_load_b128 v[16:19], off, off offset:440 ; 16-byte Folded Reload
	s_waitcnt vmcnt(0) lgkmcnt(0)
	v_mul_f64 v[0:1], v[18:19], v[26:27]
	s_delay_alu instid0(VALU_DEP_1) | instskip(SKIP_1) | instid1(VALU_DEP_1)
	v_fma_f64 v[133:134], v[16:17], v[24:25], v[0:1]
	v_mul_f64 v[0:1], v[18:19], v[24:25]
	v_fma_f64 v[135:136], v[16:17], v[26:27], -v[0:1]
	scratch_load_b128 v[16:19], off, off offset:456 ; 16-byte Folded Reload
	s_waitcnt vmcnt(0)
	v_mul_f64 v[0:1], v[18:19], v[10:11]
	s_delay_alu instid0(VALU_DEP_1) | instskip(SKIP_1) | instid1(VALU_DEP_1)
	v_fma_f64 v[137:138], v[16:17], v[8:9], v[0:1]
	v_mul_f64 v[0:1], v[18:19], v[8:9]
	v_fma_f64 v[139:140], v[16:17], v[10:11], -v[0:1]
	scratch_load_b128 v[8:11], off, off offset:472 ; 16-byte Folded Reload
	s_waitcnt vmcnt(0)
	v_mul_f64 v[0:1], v[10:11], v[14:15]
	s_delay_alu instid0(VALU_DEP_1) | instskip(SKIP_2) | instid1(VALU_DEP_2)
	v_fma_f64 v[141:142], v[8:9], v[12:13], v[0:1]
	v_mul_f64 v[0:1], v[10:11], v[12:13]
	v_mov_b32_e32 v10, v175
	v_fma_f64 v[143:144], v[8:9], v[14:15], -v[0:1]
	scratch_load_b64 v[8:9], off, off       ; 8-byte Folded Reload
	s_waitcnt vmcnt(0)
	v_mad_u64_u32 v[0:1], null, s6, v8, 0
	s_mul_hi_u32 s6, s4, 0xffff9520
	s_delay_alu instid0(SALU_CYCLE_1) | instskip(NEXT) | instid1(VALU_DEP_1)
	s_sub_i32 s6, s6, s4
	v_mad_u64_u32 v[2:3], null, s7, v8, v[1:2]
	s_delay_alu instid0(VALU_DEP_1) | instskip(SKIP_2) | instid1(VALU_DEP_2)
	v_mov_b32_e32 v1, v2
	v_mad_u64_u32 v[2:3], null, s4, v10, 0
	s_mulk_i32 s4, 0x9520
	v_lshlrev_b64 v[0:1], 4, v[0:1]
	s_delay_alu instid0(VALU_DEP_2) | instskip(SKIP_1) | instid1(SALU_CYCLE_1)
	v_mad_u64_u32 v[8:9], null, s5, v10, v[3:4]
	s_mulk_i32 s5, 0x9520
	s_add_i32 s6, s6, s5
	s_delay_alu instid0(VALU_DEP_1) | instskip(NEXT) | instid1(VALU_DEP_3)
	v_mov_b32_e32 v3, v8
	v_add_co_u32 v8, vcc_lo, s0, v0
	v_add_co_ci_u32_e32 v9, vcc_lo, s1, v1, vcc_lo
	s_delay_alu instid0(VALU_DEP_3) | instskip(SKIP_2) | instid1(SALU_CYCLE_1)
	v_lshlrev_b64 v[0:1], 4, v[2:3]
	s_mov_b32 s0, 0xa0ce5129
	s_mov_b32 s1, 0x3f3845c8
	v_mul_f64 v[2:3], v[30:31], s[0:1]
	v_mul_f64 v[10:11], v[47:48], s[0:1]
	s_delay_alu instid0(VALU_DEP_3)
	v_add_co_u32 v8, vcc_lo, v8, v0
	v_add_co_ci_u32_e32 v9, vcc_lo, v9, v1, vcc_lo
	v_mul_f64 v[0:1], v[28:29], s[0:1]
	v_mul_f64 v[12:13], v[49:50], s[0:1]
	;; [unrolled: 1-line block ×9, first 2 shown]
	global_store_b128 v[8:9], v[0:3], off
	v_mul_f64 v[0:1], v[33:34], s[0:1]
	v_mul_f64 v[2:3], v[35:36], s[0:1]
	v_add_co_u32 v8, vcc_lo, v8, s2
	v_add_co_ci_u32_e32 v9, vcc_lo, s3, v9, vcc_lo
	v_mul_f64 v[32:33], v[89:90], s[0:1]
	s_delay_alu instid0(VALU_DEP_3) | instskip(NEXT) | instid1(VALU_DEP_3)
	v_add_co_u32 v24, vcc_lo, v8, s2
	v_add_co_ci_u32_e32 v25, vcc_lo, s3, v9, vcc_lo
	v_mul_f64 v[34:35], v[91:92], s[0:1]
	global_store_b128 v[8:9], v[0:3], off
	v_mul_f64 v[0:1], v[37:38], s[0:1]
	v_mul_f64 v[2:3], v[39:40], s[0:1]
	;; [unrolled: 1-line block ×6, first 2 shown]
	global_store_b128 v[24:25], v[0:3], off
	v_mul_f64 v[0:1], v[41:42], s[0:1]
	v_mul_f64 v[2:3], v[43:44], s[0:1]
	v_add_co_u32 v24, vcc_lo, v24, s4
	v_add_co_ci_u32_e32 v25, vcc_lo, s6, v25, vcc_lo
	v_mul_f64 v[40:41], v[97:98], s[0:1]
	s_delay_alu instid0(VALU_DEP_3) | instskip(NEXT) | instid1(VALU_DEP_3)
	v_add_co_u32 v26, vcc_lo, v24, s2
	v_add_co_ci_u32_e32 v27, vcc_lo, s3, v25, vcc_lo
	v_mul_f64 v[42:43], v[99:100], s[0:1]
	v_mul_f64 v[44:45], v[101:102], s[0:1]
	global_store_b128 v[24:25], v[0:3], off
	v_add_co_u32 v0, vcc_lo, v26, s2
	v_add_co_ci_u32_e32 v1, vcc_lo, s3, v27, vcc_lo
	s_delay_alu instid0(VALU_DEP_2) | instskip(NEXT) | instid1(VALU_DEP_2)
	v_add_co_u32 v2, vcc_lo, v0, s4
	v_add_co_ci_u32_e32 v3, vcc_lo, s6, v1, vcc_lo
	s_delay_alu instid0(VALU_DEP_2) | instskip(NEXT) | instid1(VALU_DEP_2)
	v_add_co_u32 v24, vcc_lo, v2, s2
	v_add_co_ci_u32_e32 v25, vcc_lo, s3, v3, vcc_lo
	global_store_b128 v[26:27], v[8:11], off
	global_store_b128 v[0:1], v[12:15], off
	;; [unrolled: 1-line block ×4, first 2 shown]
	v_mul_f64 v[0:1], v[61:62], s[0:1]
	v_mul_f64 v[2:3], v[63:64], s[0:1]
	scratch_load_b128 v[60:63], off, off offset:296 ; 16-byte Folded Reload
	v_mul_f64 v[8:9], v[65:66], s[0:1]
	v_mul_f64 v[10:11], v[67:68], s[0:1]
	v_add_co_u32 v48, vcc_lo, v24, s2
	v_add_co_ci_u32_e32 v49, vcc_lo, s3, v25, vcc_lo
	v_mul_f64 v[12:13], v[69:70], s[0:1]
	s_delay_alu instid0(VALU_DEP_3) | instskip(NEXT) | instid1(VALU_DEP_3)
	v_add_co_u32 v50, vcc_lo, v48, s4
	v_add_co_ci_u32_e32 v51, vcc_lo, s6, v49, vcc_lo
	v_mul_f64 v[14:15], v[71:72], s[0:1]
	s_delay_alu instid0(VALU_DEP_3) | instskip(NEXT) | instid1(VALU_DEP_3)
	v_add_co_u32 v52, vcc_lo, v50, s2
	v_add_co_ci_u32_e32 v53, vcc_lo, s3, v51, vcc_lo
	v_mul_f64 v[16:17], v[73:74], s[0:1]
	v_mul_f64 v[18:19], v[75:76], s[0:1]
	s_delay_alu instid0(VALU_DEP_4)
	v_add_co_u32 v54, vcc_lo, v52, s2
	v_mul_f64 v[20:21], v[77:78], s[0:1]
	v_mul_f64 v[22:23], v[79:80], s[0:1]
	;; [unrolled: 1-line block ×4, first 2 shown]
	v_add_co_ci_u32_e32 v55, vcc_lo, s3, v53, vcc_lo
	global_store_b128 v[48:49], v[0:3], off
	global_store_b128 v[50:51], v[8:11], off
	;; [unrolled: 1-line block ×4, first 2 shown]
	v_mul_f64 v[16:17], v[121:122], s[0:1]
	v_mul_f64 v[18:19], v[123:124], s[0:1]
	s_waitcnt vmcnt(0)
	v_mul_f64 v[56:57], v[62:63], v[6:7]
	v_mul_f64 v[58:59], v[62:63], v[4:5]
	v_dual_mov_b32 v63, v61 :: v_dual_mov_b32 v62, v60
	v_add_co_u32 v60, vcc_lo, v54, s4
	v_add_co_ci_u32_e32 v61, vcc_lo, s6, v55, vcc_lo
	s_delay_alu instid0(VALU_DEP_2) | instskip(NEXT) | instid1(VALU_DEP_2)
	v_add_co_u32 v0, vcc_lo, v60, s2
	v_add_co_ci_u32_e32 v1, vcc_lo, s3, v61, vcc_lo
	global_store_b128 v[60:61], v[20:23], off
	v_add_co_u32 v2, vcc_lo, v0, s2
	v_add_co_ci_u32_e32 v3, vcc_lo, s3, v1, vcc_lo
	global_store_b128 v[0:1], v[24:27], off
	v_add_co_u32 v8, vcc_lo, v2, s4
	v_add_co_ci_u32_e32 v9, vcc_lo, s6, v3, vcc_lo
	v_mul_f64 v[0:1], v[105:106], s[0:1]
	s_delay_alu instid0(VALU_DEP_3) | instskip(NEXT) | instid1(VALU_DEP_3)
	v_add_co_u32 v10, vcc_lo, v8, s2
	v_add_co_ci_u32_e32 v11, vcc_lo, s3, v9, vcc_lo
	v_mul_f64 v[20:21], v[125:126], s[0:1]
	s_delay_alu instid0(VALU_DEP_3) | instskip(NEXT) | instid1(VALU_DEP_3)
	;; [unrolled: 4-line block ×3, first 2 shown]
	v_add_co_u32 v14, vcc_lo, v12, s4
	v_add_co_ci_u32_e32 v15, vcc_lo, s6, v13, vcc_lo
	global_store_b128 v[2:3], v[28:31], off
	global_store_b128 v[8:9], v[32:35], off
	;; [unrolled: 1-line block ×5, first 2 shown]
	v_fma_f64 v[40:41], v[62:63], v[4:5], v[56:57]
	v_fma_f64 v[42:43], v[62:63], v[6:7], -v[58:59]
	v_mul_f64 v[2:3], v[107:108], s[0:1]
	v_mul_f64 v[4:5], v[109:110], s[0:1]
	;; [unrolled: 1-line block ×3, first 2 shown]
	v_add_co_u32 v44, vcc_lo, v14, s2
	v_add_co_ci_u32_e32 v45, vcc_lo, s3, v15, vcc_lo
	v_mul_f64 v[8:9], v[113:114], s[0:1]
	s_delay_alu instid0(VALU_DEP_3) | instskip(NEXT) | instid1(VALU_DEP_3)
	v_add_co_u32 v46, vcc_lo, v44, s2
	v_add_co_ci_u32_e32 v47, vcc_lo, s3, v45, vcc_lo
	v_mul_f64 v[10:11], v[115:116], s[0:1]
	s_delay_alu instid0(VALU_DEP_3) | instskip(NEXT) | instid1(VALU_DEP_3)
	v_add_co_u32 v48, vcc_lo, v46, s4
	v_add_co_ci_u32_e32 v49, vcc_lo, s6, v47, vcc_lo
	v_mul_f64 v[12:13], v[117:118], s[0:1]
	v_mul_f64 v[14:15], v[119:120], s[0:1]
	s_delay_alu instid0(VALU_DEP_4)
	v_add_co_u32 v50, vcc_lo, v48, s2
	v_mul_f64 v[24:25], v[129:130], s[0:1]
	v_mul_f64 v[26:27], v[131:132], s[0:1]
	v_mul_f64 v[28:29], v[133:134], s[0:1]
	v_mul_f64 v[30:31], v[135:136], s[0:1]
	v_add_co_ci_u32_e32 v51, vcc_lo, s3, v49, vcc_lo
	v_mul_f64 v[32:33], v[137:138], s[0:1]
	v_mul_f64 v[34:35], v[139:140], s[0:1]
	;; [unrolled: 1-line block ×4, first 2 shown]
	v_add_co_u32 v52, vcc_lo, v50, s2
	v_add_co_ci_u32_e32 v53, vcc_lo, s3, v51, vcc_lo
	v_mul_f64 v[40:41], v[40:41], s[0:1]
	v_mul_f64 v[42:43], v[42:43], s[0:1]
	global_store_b128 v[44:45], v[0:3], off
	v_add_co_u32 v0, vcc_lo, v52, s4
	v_add_co_ci_u32_e32 v1, vcc_lo, s6, v53, vcc_lo
	global_store_b128 v[46:47], v[4:7], off
	v_add_co_u32 v2, vcc_lo, v0, s2
	v_add_co_ci_u32_e32 v3, vcc_lo, s3, v1, vcc_lo
	s_delay_alu instid0(VALU_DEP_2) | instskip(NEXT) | instid1(VALU_DEP_2)
	v_add_co_u32 v4, vcc_lo, v2, s2
	v_add_co_ci_u32_e32 v5, vcc_lo, s3, v3, vcc_lo
	global_store_b128 v[48:49], v[8:11], off
	v_add_co_u32 v6, vcc_lo, v4, s4
	v_add_co_ci_u32_e32 v7, vcc_lo, s6, v5, vcc_lo
	global_store_b128 v[50:51], v[12:15], off
	v_add_co_u32 v8, vcc_lo, v6, s2
	v_add_co_ci_u32_e32 v9, vcc_lo, s3, v7, vcc_lo
	global_store_b128 v[52:53], v[16:19], off
	global_store_b128 v[0:1], v[20:23], off
	v_add_co_u32 v0, vcc_lo, v8, s2
	v_add_co_ci_u32_e32 v1, vcc_lo, s3, v9, vcc_lo
	global_store_b128 v[2:3], v[24:27], off
	global_store_b128 v[4:5], v[28:31], off
	;; [unrolled: 1-line block ×5, first 2 shown]
.LBB0_2:
	s_nop 0
	s_sendmsg sendmsg(MSG_DEALLOC_VGPRS)
	s_endpgm
	.section	.rodata,"a",@progbits
	.p2align	6, 0x0
	.amdhsa_kernel bluestein_single_fwd_len2700_dim1_dp_op_CI_CI
		.amdhsa_group_segment_fixed_size 43200
		.amdhsa_private_segment_fixed_size 1788
		.amdhsa_kernarg_size 104
		.amdhsa_user_sgpr_count 15
		.amdhsa_user_sgpr_dispatch_ptr 0
		.amdhsa_user_sgpr_queue_ptr 0
		.amdhsa_user_sgpr_kernarg_segment_ptr 1
		.amdhsa_user_sgpr_dispatch_id 0
		.amdhsa_user_sgpr_private_segment_size 0
		.amdhsa_wavefront_size32 1
		.amdhsa_uses_dynamic_stack 0
		.amdhsa_enable_private_segment 1
		.amdhsa_system_sgpr_workgroup_id_x 1
		.amdhsa_system_sgpr_workgroup_id_y 0
		.amdhsa_system_sgpr_workgroup_id_z 0
		.amdhsa_system_sgpr_workgroup_info 0
		.amdhsa_system_vgpr_workitem_id 0
		.amdhsa_next_free_vgpr 256
		.amdhsa_next_free_sgpr 29
		.amdhsa_reserve_vcc 1
		.amdhsa_float_round_mode_32 0
		.amdhsa_float_round_mode_16_64 0
		.amdhsa_float_denorm_mode_32 3
		.amdhsa_float_denorm_mode_16_64 3
		.amdhsa_dx10_clamp 1
		.amdhsa_ieee_mode 1
		.amdhsa_fp16_overflow 0
		.amdhsa_workgroup_processor_mode 1
		.amdhsa_memory_ordered 1
		.amdhsa_forward_progress 0
		.amdhsa_shared_vgpr_count 0
		.amdhsa_exception_fp_ieee_invalid_op 0
		.amdhsa_exception_fp_denorm_src 0
		.amdhsa_exception_fp_ieee_div_zero 0
		.amdhsa_exception_fp_ieee_overflow 0
		.amdhsa_exception_fp_ieee_underflow 0
		.amdhsa_exception_fp_ieee_inexact 0
		.amdhsa_exception_int_div_zero 0
	.end_amdhsa_kernel
	.text
.Lfunc_end0:
	.size	bluestein_single_fwd_len2700_dim1_dp_op_CI_CI, .Lfunc_end0-bluestein_single_fwd_len2700_dim1_dp_op_CI_CI
                                        ; -- End function
	.section	.AMDGPU.csdata,"",@progbits
; Kernel info:
; codeLenInByte = 49028
; NumSgprs: 31
; NumVgprs: 256
; ScratchSize: 1788
; MemoryBound: 0
; FloatMode: 240
; IeeeMode: 1
; LDSByteSize: 43200 bytes/workgroup (compile time only)
; SGPRBlocks: 3
; VGPRBlocks: 31
; NumSGPRsForWavesPerEU: 31
; NumVGPRsForWavesPerEU: 256
; Occupancy: 3
; WaveLimiterHint : 1
; COMPUTE_PGM_RSRC2:SCRATCH_EN: 1
; COMPUTE_PGM_RSRC2:USER_SGPR: 15
; COMPUTE_PGM_RSRC2:TRAP_HANDLER: 0
; COMPUTE_PGM_RSRC2:TGID_X_EN: 1
; COMPUTE_PGM_RSRC2:TGID_Y_EN: 0
; COMPUTE_PGM_RSRC2:TGID_Z_EN: 0
; COMPUTE_PGM_RSRC2:TIDIG_COMP_CNT: 0
	.text
	.p2alignl 7, 3214868480
	.fill 96, 4, 3214868480
	.type	__hip_cuid_dd015964159abeb2,@object ; @__hip_cuid_dd015964159abeb2
	.section	.bss,"aw",@nobits
	.globl	__hip_cuid_dd015964159abeb2
__hip_cuid_dd015964159abeb2:
	.byte	0                               ; 0x0
	.size	__hip_cuid_dd015964159abeb2, 1

	.ident	"AMD clang version 19.0.0git (https://github.com/RadeonOpenCompute/llvm-project roc-6.4.0 25133 c7fe45cf4b819c5991fe208aaa96edf142730f1d)"
	.section	".note.GNU-stack","",@progbits
	.addrsig
	.addrsig_sym __hip_cuid_dd015964159abeb2
	.amdgpu_metadata
---
amdhsa.kernels:
  - .args:
      - .actual_access:  read_only
        .address_space:  global
        .offset:         0
        .size:           8
        .value_kind:     global_buffer
      - .actual_access:  read_only
        .address_space:  global
        .offset:         8
        .size:           8
        .value_kind:     global_buffer
      - .actual_access:  read_only
        .address_space:  global
        .offset:         16
        .size:           8
        .value_kind:     global_buffer
      - .actual_access:  read_only
        .address_space:  global
        .offset:         24
        .size:           8
        .value_kind:     global_buffer
      - .actual_access:  read_only
        .address_space:  global
        .offset:         32
        .size:           8
        .value_kind:     global_buffer
      - .offset:         40
        .size:           8
        .value_kind:     by_value
      - .address_space:  global
        .offset:         48
        .size:           8
        .value_kind:     global_buffer
      - .address_space:  global
        .offset:         56
        .size:           8
        .value_kind:     global_buffer
      - .address_space:  global
        .offset:         64
        .size:           8
        .value_kind:     global_buffer
      - .address_space:  global
        .offset:         72
        .size:           8
        .value_kind:     global_buffer
      - .offset:         80
        .size:           4
        .value_kind:     by_value
      - .address_space:  global
        .offset:         88
        .size:           8
        .value_kind:     global_buffer
      - .address_space:  global
        .offset:         96
        .size:           8
        .value_kind:     global_buffer
    .group_segment_fixed_size: 43200
    .kernarg_segment_align: 8
    .kernarg_segment_size: 104
    .language:       OpenCL C
    .language_version:
      - 2
      - 0
    .max_flat_workgroup_size: 90
    .name:           bluestein_single_fwd_len2700_dim1_dp_op_CI_CI
    .private_segment_fixed_size: 1788
    .sgpr_count:     31
    .sgpr_spill_count: 0
    .symbol:         bluestein_single_fwd_len2700_dim1_dp_op_CI_CI.kd
    .uniform_work_group_size: 1
    .uses_dynamic_stack: false
    .vgpr_count:     256
    .vgpr_spill_count: 453
    .wavefront_size: 32
    .workgroup_processor_mode: 1
amdhsa.target:   amdgcn-amd-amdhsa--gfx1100
amdhsa.version:
  - 1
  - 2
...

	.end_amdgpu_metadata
